;; amdgpu-corpus repo=zjin-lcf/HeCBench kind=compiled arch=gfx950 opt=O3
	.amdgcn_target "amdgcn-amd-amdhsa--gfx950"
	.amdhsa_code_object_version 6
	.text
	.protected	_Z21k_forward_rush_larsenPdddPKdi ; -- Begin function _Z21k_forward_rush_larsenPdddPKdi
	.globl	_Z21k_forward_rush_larsenPdddPKdi
	.p2align	8
	.type	_Z21k_forward_rush_larsenPdddPKdi,@function
_Z21k_forward_rush_larsenPdddPKdi:      ; @_Z21k_forward_rush_larsenPdddPKdi
; %bb.0:
	s_load_dword s3, s[0:1], 0x34
	s_load_dword s4, s[0:1], 0x20
	s_waitcnt lgkmcnt(0)
	s_and_b32 s3, s3, 0xffff
	s_mul_i32 s2, s2, s3
	v_add_u32_e32 v2, s2, v0
	v_cmp_gt_i32_e32 vcc, s4, v2
	s_and_saveexec_b64 s[2:3], vcc
	s_cbranch_execz .LBB0_86
; %bb.1:
	s_load_dwordx8 s[8:15], s[0:1], 0x0
	v_ashrrev_i32_e32 v3, 31, v2
	s_ashr_i32 s5, s4, 31
	v_lshlrev_b64 v[0:1], 3, v[2:3]
	s_lshl_b64 s[0:1], s[4:5], 3
	s_waitcnt lgkmcnt(0)
	v_lshl_add_u64 v[26:27], s[8:9], 0, v[0:1]
	v_lshl_add_u64 v[0:1], s[14:15], 0, v[0:1]
	v_lshl_add_u64 v[84:85], v[26:27], 0, s[0:1]
	global_load_dwordx2 v[60:61], v[26:27], off
	global_load_dwordx2 v[8:9], v[84:85], off
	v_lshl_add_u64 v[54:55], v[0:1], 0, s[0:1]
	global_load_dwordx2 v[0:1], v[0:1], off
	s_add_i32 s2, s4, s4
	v_add_u32_e32 v4, s2, v2
	v_ashrrev_i32_e32 v5, 31, v4
	v_lshlrev_b64 v[2:3], 3, v[4:5]
	v_lshl_add_u64 v[22:23], s[8:9], 0, v[2:3]
	v_lshl_add_u64 v[2:3], s[14:15], 0, v[2:3]
	v_add_u32_e32 v4, s4, v4
	v_ashrrev_i32_e32 v5, 31, v4
	v_lshlrev_b64 v[6:7], 3, v[4:5]
	v_lshl_add_u64 v[102:103], s[8:9], 0, v[6:7]
	v_lshl_add_u64 v[6:7], s[14:15], 0, v[6:7]
	v_add_u32_e32 v4, s4, v4
	v_ashrrev_i32_e32 v5, 31, v4
	s_lshl_b32 s5, s4, 1
	s_mov_b32 s0, 0
	s_mov_b32 s1, 0x401c0000
	;; [unrolled: 1-line block ×26, first 2 shown]
	s_waitcnt vmcnt(1)
	scratch_store_dwordx2 off, v[8:9], off offset:8 ; 8-byte Folded Spill
	global_load_dwordx2 v[8:9], v[22:23], off
	s_waitcnt vmcnt(2)
	scratch_store_dwordx2 off, v[0:1], off offset:200 ; 8-byte Folded Spill
	global_load_dwordx2 v[0:1], v[54:55], off
	;; [unrolled: 3-line block ×4, first 2 shown]
	s_waitcnt vmcnt(2)
	scratch_store_dwordx2 off, v[8:9], off offset:80 ; 8-byte Folded Spill
	v_lshlrev_b64 v[8:9], 3, v[4:5]
	v_add_u32_e32 v4, s4, v4
	s_waitcnt vmcnt(1)
	scratch_store_dwordx2 off, v[0:1], off offset:176 ; 8-byte Folded Spill
	global_load_dwordx2 v[0:1], v[6:7], off
	v_ashrrev_i32_e32 v5, 31, v4
	v_lshlrev_b64 v[10:11], 3, v[4:5]
	v_lshl_add_u64 v[2:3], s[14:15], 0, v[10:11]
	v_add_u32_e32 v4, s4, v4
	v_ashrrev_i32_e32 v5, 31, v4
	v_lshlrev_b64 v[14:15], 3, v[4:5]
	v_lshl_add_u64 v[6:7], s[14:15], 0, v[14:15]
	v_add_u32_e32 v4, s4, v4
	;; [unrolled: 4-line block ×3, first 2 shown]
	v_ashrrev_i32_e32 v5, 31, v4
	v_lshlrev_b64 v[20:21], 3, v[4:5]
	v_add_u32_e32 v4, s4, v4
	v_ashrrev_i32_e32 v5, 31, v4
	v_lshlrev_b64 v[30:31], 3, v[4:5]
	v_add_u32_e32 v4, s4, v4
	;; [unrolled: 3-line block ×4, first 2 shown]
	v_add_u32_e32 v36, s5, v34
	v_ashrrev_i32_e32 v37, 31, v36
	v_mad_u64_u32 v[38:39], s[2:3], s4, -3, v[36:37]
	v_ashrrev_i32_e32 v39, 31, v38
	v_add_u32_e32 v40, s5, v38
	v_lshlrev_b64 v[38:39], 3, v[38:39]
	v_add_u32_e32 v42, s5, v40
	v_add_u32_e32 v44, s4, v42
	v_ashrrev_i32_e32 v45, 31, v44
	v_lshlrev_b64 v[46:47], 3, v[44:45]
	v_ashrrev_i32_e32 v35, 31, v34
	v_ashrrev_i32_e32 v43, 31, v42
	v_lshl_add_u64 v[4:5], s[8:9], 0, v[46:47]
	v_lshlrev_b64 v[34:35], 3, v[34:35]
	v_ashrrev_i32_e32 v41, 31, v40
	v_lshlrev_b64 v[42:43], 3, v[42:43]
	scratch_store_dwordx2 off, v[4:5], off offset:136 ; 8-byte Folded Spill
	v_lshlrev_b64 v[36:37], 3, v[36:37]
	v_lshlrev_b64 v[40:41], 3, v[40:41]
	global_load_dwordx2 v[4:5], v[4:5], off
	v_lshl_add_u64 v[76:77], s[8:9], 0, v[38:39]
	v_add_u32_e32 v44, s4, v44
	v_ashrrev_i32_e32 v45, 31, v44
	v_lshlrev_b64 v[52:53], 3, v[44:45]
	v_lshl_add_u64 v[16:17], s[8:9], 0, v[10:11]
	v_lshl_add_u64 v[50:51], s[8:9], 0, v[30:31]
	;; [unrolled: 1-line block ×12, first 2 shown]
	s_mov_b32 s8, 0x3b39803f
	s_mov_b32 s9, 0xbc7abc9e
	s_waitcnt vmcnt(2)
	scratch_store_dwordx2 off, v[0:1], off offset:144 ; 8-byte Folded Spill
	v_lshl_add_u64 v[0:1], s[14:15], 0, v[8:9]
	global_load_dwordx2 v[0:1], v[0:1], off
	v_lshl_add_u64 v[8:9], s[14:15], 0, v[18:19]
	s_waitcnt vmcnt(0)
	scratch_store_dwordx2 off, v[0:1], off offset:256 ; 8-byte Folded Spill
	global_load_dwordx2 v[0:1], v[2:3], off
	v_lshl_add_u64 v[2:3], s[14:15], 0, v[30:31]
	s_waitcnt vmcnt(0)
	scratch_store_dwordx2 off, v[0:1], off offset:40 ; 8-byte Folded Spill
	global_load_dwordx2 v[0:1], v[6:7], off
	v_lshl_add_u64 v[6:7], s[14:15], 0, v[32:33]
	s_waitcnt vmcnt(0)
	scratch_store_dwordx2 off, v[0:1], off offset:120 ; 8-byte Folded Spill
	global_load_dwordx2 v[0:1], v[8:9], off
	v_lshl_add_u64 v[8:9], s[14:15], 0, v[48:49]
	s_waitcnt vmcnt(0)
	scratch_store_dwordx2 off, v[0:1], off offset:96 ; 8-byte Folded Spill
	v_lshl_add_u64 v[0:1], s[14:15], 0, v[20:21]
	global_load_dwordx2 v[0:1], v[0:1], off
	s_waitcnt vmcnt(0)
	scratch_store_dwordx2 off, v[0:1], off offset:168 ; 8-byte Folded Spill
	global_load_dwordx2 v[0:1], v[2:3], off
	v_lshl_add_u64 v[2:3], s[14:15], 0, v[34:35]
	s_waitcnt vmcnt(0)
	scratch_store_dwordx2 off, v[0:1], off offset:264 ; 8-byte Folded Spill
	global_load_dwordx2 v[0:1], v[6:7], off
	v_lshl_add_u64 v[6:7], s[14:15], 0, v[40:41]
	s_waitcnt vmcnt(0)
	scratch_store_dwordx2 off, v[0:1], off offset:272 ; 8-byte Folded Spill
	global_load_dwordx2 v[0:1], v[8:9], off
	v_lshl_add_u64 v[8:9], s[14:15], 0, v[36:37]
	s_waitcnt vmcnt(0)
	scratch_store_dwordx2 off, v[0:1], off offset:280 ; 8-byte Folded Spill
	v_lshl_add_u64 v[0:1], s[14:15], 0, v[38:39]
	global_load_dwordx2 v[0:1], v[0:1], off
	s_waitcnt vmcnt(0)
	scratch_store_dwordx2 off, v[0:1], off offset:48 ; 8-byte Folded Spill
	v_lshl_add_u64 v[0:1], s[14:15], 0, v[42:43]
	global_load_dwordx2 v[38:39], v[2:3], off
	global_load_dwordx2 v[126:127], v[6:7], off
	;; [unrolled: 1-line block ×3, first 2 shown]
	v_add_u32_e32 v8, s4, v44
	global_load_dwordx2 v[0:1], v[0:1], off
	v_lshl_add_u64 v[2:3], s[14:15], 0, v[46:47]
	v_ashrrev_i32_e32 v9, 31, v8
	v_lshl_add_u64 v[6:7], s[14:15], 0, v[52:53]
	v_lshl_add_u64 v[10:11], v[8:9], 3, s[14:15]
	s_waitcnt vmcnt(0)
	scratch_store_dwordx2 off, v[0:1], off offset:104 ; 8-byte Folded Spill
	global_load_dwordx2 v[48:49], v[2:3], off
	global_load_dwordx2 v[124:125], v[6:7], off
	;; [unrolled: 1-line block ×3, first 2 shown]
	v_add_u32_e32 v2, s4, v8
	v_add_u32_e32 v6, s4, v2
	v_ashrrev_i32_e32 v3, 31, v2
	v_ashrrev_i32_e32 v7, 31, v6
	v_lshl_add_u64 v[0:1], v[2:3], 3, s[14:15]
	v_lshl_add_u64 v[2:3], v[6:7], 3, s[14:15]
	v_add_u32_e32 v6, s4, v6
	v_ashrrev_i32_e32 v7, 31, v6
	v_lshl_add_u64 v[10:11], v[6:7], 3, s[14:15]
	v_add_u32_e32 v14, s4, v6
	global_load_dwordx2 v[6:7], v[58:59], off
	v_ashrrev_i32_e32 v15, 31, v14
	scratch_store_dwordx2 off, v[58:59], off offset:128 ; 8-byte Folded Spill
	v_lshl_add_u64 v[20:21], v[14:15], 3, s[14:15]
	s_waitcnt vmcnt(1)
	scratch_store_dwordx2 off, v[6:7], off offset:32 ; 8-byte Folded Spill
	scratch_store_dwordx2 off, v[62:63], off offset:192 ; 8-byte Folded Spill
	global_load_dwordx2 v[0:1], v[0:1], off
	v_div_scale_f64 v[6:7], s[2:3], s[0:1], s[0:1], v[4:5]
	global_load_dwordx2 v[46:47], v[62:63], off
	v_rcp_f64_e32 v[8:9], v[6:7]
	s_mov_b32 s2, 0x652b82fe
	s_mov_b32 s3, 0x3ff71547
	s_waitcnt vmcnt(1)
	scratch_store_dwordx2 off, v[0:1], off offset:112 ; 8-byte Folded Spill
	global_load_dwordx2 v[62:63], v[2:3], off
	s_nop 0
	global_load_dwordx2 v[0:1], v[10:11], off
	v_fma_f64 v[2:3], -v[6:7], v[8:9], 1.0
	v_fmac_f64_e32 v[8:9], v[8:9], v[2:3]
	v_fma_f64 v[2:3], -v[6:7], v[8:9], 1.0
	v_fmac_f64_e32 v[8:9], v[8:9], v[2:3]
	v_div_scale_f64 v[2:3], vcc, v[4:5], s[0:1], v[4:5]
	v_mul_f64 v[10:11], v[2:3], v[8:9]
	v_fma_f64 v[2:3], -v[6:7], v[10:11], v[2:3]
	scratch_store_dwordx2 off, v[60:61], off offset:88 ; 8-byte Folded Spill
	s_nop 0
	v_div_fmas_f64 v[2:3], v[2:3], v[8:9], v[10:11]
	v_div_fixup_f64 v[96:97], v[2:3], s[0:1], v[4:5]
	s_mov_b32 s0, 0x6db6db6e
	s_mov_b32 s1, 0xc00db6db
	v_add_f64 v[6:7], -v[96:97], s[0:1]
	v_mul_f64 v[2:3], v[6:7], s[2:3]
	v_rndne_f64_e32 v[2:3], v[2:3]
	s_mov_b32 s0, 0xfca7ab0c
	v_fma_f64 v[8:9], s[6:7], v[2:3], v[6:7]
	s_mov_b32 s1, 0x3e928af3
	v_fmac_f64_e32 v[8:9], s[8:9], v[2:3]
	v_mov_b64_e32 v[10:11], s[0:1]
	s_waitcnt vmcnt(1)
	scratch_store_dwordx2 off, v[0:1], off offset:336 ; 8-byte Folded Spill
	global_load_dwordx2 v[0:1], v[20:21], off
	v_mov_b32_e32 v21, 0x3ff00000
	s_waitcnt vmcnt(0)
	scratch_store_dwordx2 off, v[0:1], off offset:296 ; 8-byte Folded Spill
	v_add_u32_e32 v0, s4, v14
	v_fma_f64 v[14:15], s[16:17], v[8:9], v[10:11]
	v_fma_f64 v[14:15], v[8:9], v[14:15], s[18:19]
	;; [unrolled: 1-line block ×9, first 2 shown]
	v_fma_f64 v[14:15], v[8:9], v[14:15], 1.0
	v_fma_f64 v[8:9], v[8:9], v[14:15], 1.0
	v_cvt_i32_f64_e32 v1, v[2:3]
	v_ldexp_f64 v[2:3], v[8:9], v1
	v_add_f64 v[8:9], v[2:3], 1.0
	v_div_scale_f64 v[14:15], s[0:1], v[8:9], v[8:9], 1.0
	v_rcp_f64_e32 v[18:19], v[14:15]
	v_ashrrev_i32_e32 v1, 31, v0
	v_lshl_add_u64 v[2:3], v[0:1], 3, s[14:15]
	v_add_u32_e32 v20, s4, v0
	v_fma_f64 v[0:1], -v[14:15], v[18:19], 1.0
	v_fmac_f64_e32 v[18:19], v[18:19], v[0:1]
	v_fma_f64 v[0:1], -v[14:15], v[18:19], 1.0
	v_fmac_f64_e32 v[18:19], v[18:19], v[0:1]
	v_div_scale_f64 v[0:1], vcc, 1.0, v[8:9], 1.0
	v_mul_f64 v[32:33], v[0:1], v[18:19]
	v_fma_f64 v[0:1], -v[14:15], v[32:33], v[0:1]
	v_cmp_nlt_f64_e64 s[0:1], s[36:37], v[6:7]
	s_nop 0
	v_div_fmas_f64 v[0:1], v[0:1], v[18:19], v[32:33]
	v_div_fixup_f64 v[8:9], v[0:1], v[8:9], 1.0
	v_div_scale_f64 v[0:1], s[40:41], s[38:39], s[38:39], v[4:5]
	v_rcp_f64_e32 v[14:15], v[0:1]
	s_mov_b32 s40, 0
	s_mov_b32 s41, 0xc090cc00
	v_cndmask_b32_e64 v9, 0, v9, s[0:1]
	v_fma_f64 v[18:19], -v[0:1], v[14:15], 1.0
	v_fmac_f64_e32 v[14:15], v[14:15], v[18:19]
	v_fma_f64 v[18:19], -v[0:1], v[14:15], 1.0
	v_fmac_f64_e32 v[14:15], v[14:15], v[18:19]
	v_div_scale_f64 v[18:19], vcc, v[4:5], s[38:39], v[4:5]
	v_mul_f64 v[32:33], v[18:19], v[14:15]
	v_fma_f64 v[0:1], -v[0:1], v[32:33], v[18:19]
	s_nop 1
	v_div_fmas_f64 v[0:1], v[0:1], v[14:15], v[32:33]
	v_div_fixup_f64 v[0:1], v[0:1], s[38:39], v[4:5]
	s_mov_b32 s38, 0
	s_mov_b32 s39, 0xc0120000
	v_add_f64 v[14:15], -v[0:1], s[38:39]
	v_mul_f64 v[18:19], v[14:15], s[2:3]
	v_rndne_f64_e32 v[18:19], v[18:19]
	v_fma_f64 v[32:33], s[6:7], v[18:19], v[14:15]
	v_fmac_f64_e32 v[32:33], s[8:9], v[18:19]
	v_fma_f64 v[34:35], s[16:17], v[32:33], v[10:11]
	v_fma_f64 v[34:35], v[32:33], v[34:35], s[18:19]
	;; [unrolled: 1-line block ×9, first 2 shown]
	v_fma_f64 v[34:35], v[32:33], v[34:35], 1.0
	v_fma_f64 v[32:33], v[32:33], v[34:35], 1.0
	v_cvt_i32_f64_e32 v18, v[18:19]
	v_ldexp_f64 v[18:19], v[32:33], v18
	s_mov_b32 s38, 0
	v_add_f64 v[18:19], v[18:19], 1.0
	s_mov_b32 s39, 0x407c2000
	v_div_scale_f64 v[32:33], s[42:43], v[18:19], v[18:19], s[38:39]
	v_rcp_f64_e32 v[34:35], v[32:33]
	v_cmp_ngt_f64_e32 vcc, s[40:41], v[6:7]
	s_nop 1
	v_cndmask_b32_e32 v7, v21, v9, vcc
	s_and_b64 vcc, vcc, s[0:1]
	v_cndmask_b32_e32 v6, 0, v8, vcc
	v_fma_f64 v[8:9], -v[32:33], v[34:35], 1.0
	v_fmac_f64_e32 v[34:35], v[34:35], v[8:9]
	v_fma_f64 v[8:9], -v[32:33], v[34:35], 1.0
	v_fmac_f64_e32 v[34:35], v[34:35], v[8:9]
	v_div_scale_f64 v[8:9], vcc, s[38:39], v[18:19], s[38:39]
	v_mul_f64 v[36:37], v[8:9], v[34:35]
	v_fma_f64 v[8:9], -v[32:33], v[36:37], v[8:9]
	s_mov_b32 s0, 0x590b2162
	s_nop 0
	v_div_fmas_f64 v[8:9], v[8:9], v[34:35], v[36:37]
	s_mov_b32 s1, 0x3fb642c8
	v_div_fixup_f64 v[8:9], v[8:9], v[18:19], s[38:39]
	v_mul_f64 v[18:19], v[4:5], s[0:1]
	v_mul_f64 v[32:33], v[18:19], s[2:3]
	v_rndne_f64_e32 v[32:33], v[32:33]
	v_fma_f64 v[34:35], s[6:7], v[32:33], v[18:19]
	v_fmac_f64_e32 v[34:35], s[8:9], v[32:33]
	v_fmac_f64_e32 v[10:11], s[16:17], v[34:35]
	v_fma_f64 v[10:11], v[34:35], v[10:11], s[18:19]
	v_fma_f64 v[10:11], v[34:35], v[10:11], s[20:21]
	;; [unrolled: 1-line block ×8, first 2 shown]
	v_fma_f64 v[10:11], v[34:35], v[10:11], 1.0
	v_fma_f64 v[10:11], v[34:35], v[10:11], 1.0
	v_cvt_i32_f64_e32 v32, v[32:33]
	s_mov_b32 s0, 0x5e29ac20
	v_ldexp_f64 v[10:11], v[10:11], v32
	s_mov_b32 s1, 0x402b29a3
	s_mov_b32 s2, 0
	v_fma_f64 v[10:11], v[10:11], s[0:1], 1.0
	s_mov_b32 s3, 0x40180000
	v_div_scale_f64 v[32:33], s[0:1], v[10:11], v[10:11], s[2:3]
	v_rcp_f64_e32 v[34:35], v[32:33]
	v_cmp_nlt_f64_e32 vcc, s[36:37], v[14:15]
	v_cmp_ngt_f64_e64 s[0:1], s[40:41], v[14:15]
	v_mov_b32_e32 v21, 0x407c2000
	v_fma_f64 v[14:15], -v[32:33], v[34:35], 1.0
	v_fmac_f64_e32 v[34:35], v[34:35], v[14:15]
	v_cndmask_b32_e32 v9, 0, v9, vcc
	s_and_b64 vcc, s[0:1], vcc
	v_fma_f64 v[14:15], -v[32:33], v[34:35], 1.0
	v_cndmask_b32_e32 v8, 0, v8, vcc
	v_fmac_f64_e32 v[34:35], v[34:35], v[14:15]
	v_div_scale_f64 v[14:15], vcc, s[2:3], v[10:11], s[2:3]
	v_mul_f64 v[36:37], v[14:15], v[34:35]
	v_cndmask_b32_e64 v9, v21, v9, s[0:1]
	v_fma_f64 v[14:15], -v[32:33], v[36:37], v[14:15]
	v_ashrrev_i32_e32 v21, 31, v20
	v_div_fmas_f64 v[14:15], v[14:15], v[34:35], v[36:37]
	v_cmp_nlt_f64_e32 vcc, s[36:37], v[18:19]
	v_cmp_ngt_f64_e64 s[0:1], s[40:41], v[18:19]
	v_lshl_add_u64 v[18:19], v[20:21], 3, s[14:15]
	global_load_dwordx2 v[52:53], v[2:3], off
	s_nop 0
	global_load_dwordx2 v[2:3], v[18:19], off
	v_div_fixup_f64 v[10:11], v[14:15], v[10:11], s[2:3]
	v_cndmask_b32_e32 v11, 0, v11, vcc
	v_mov_b32_e32 v14, 0x40180000
	s_and_b64 vcc, s[0:1], vcc
	v_cndmask_b32_e64 v11, v14, v11, s[0:1]
	v_cndmask_b32_e32 v10, 0, v10, vcc
	v_mul_f64 v[8:9], v[8:9], v[10:11]
	v_add_f64 v[6:7], v[6:7], -v[60:61]
	v_div_scale_f64 v[10:11], s[0:1], v[8:9], v[8:9], v[6:7]
	v_rcp_f64_e32 v[14:15], v[10:11]
	v_add_u32_e32 v20, s4, v20
	v_ashrrev_i32_e32 v21, 31, v20
	v_fma_f64 v[32:33], -v[10:11], v[14:15], 1.0
	v_fmac_f64_e32 v[14:15], v[14:15], v[32:33]
	v_fma_f64 v[32:33], -v[10:11], v[14:15], 1.0
	v_fmac_f64_e32 v[14:15], v[14:15], v[32:33]
	v_div_scale_f64 v[32:33], vcc, v[6:7], v[8:9], v[6:7]
	v_mul_f64 v[34:35], v[32:33], v[14:15]
	v_fma_f64 v[10:11], -v[10:11], v[34:35], v[32:33]
	v_div_scale_f64 v[32:33], s[0:1], v[8:9], v[8:9], -1.0
	v_rcp_f64_e32 v[36:37], v[32:33]
	v_div_fmas_f64 v[10:11], v[10:11], v[14:15], v[34:35]
	v_div_fixup_f64 v[6:7], v[10:11], v[8:9], v[6:7]
	s_mov_b32 s0, 0xe2308c3a
	v_fma_f64 v[14:15], -v[32:33], v[36:37], 1.0
	v_fmac_f64_e32 v[36:37], v[36:37], v[14:15]
	v_fma_f64 v[14:15], -v[32:33], v[36:37], 1.0
	v_fmac_f64_e32 v[36:37], v[36:37], v[14:15]
	v_div_scale_f64 v[14:15], vcc, -1.0, v[8:9], -1.0
	v_mul_f64 v[34:35], v[14:15], v[36:37]
	v_fma_f64 v[14:15], -v[32:33], v[34:35], v[14:15]
	v_lshl_add_u64 v[32:33], v[20:21], 3, s[14:15]
	v_add_u32_e32 v20, s4, v20
	v_ashrrev_i32_e32 v21, 31, v20
	v_div_fmas_f64 v[14:15], v[14:15], v[36:37], v[34:35]
	v_lshl_add_u64 v[34:35], v[20:21], 3, s[14:15]
	s_mov_b32 s1, 0x3e45798e
	s_waitcnt vmcnt(0)
	scratch_store_dwordx2 off, v[2:3], off offset:344 ; 8-byte Folded Spill
	v_add_u32_e32 v2, s4, v20
	v_ashrrev_i32_e32 v3, 31, v2
	v_lshl_add_u64 v[18:19], v[2:3], 3, s[14:15]
	global_load_dwordx2 v[92:93], v[32:33], off
	global_load_dwordx2 v[74:75], v[34:35], off
	v_add_u32_e32 v2, s4, v2
	global_load_dwordx2 v[18:19], v[18:19], off
	v_ashrrev_i32_e32 v3, 31, v2
	v_add_u32_e32 v20, s4, v2
	v_lshl_add_u64 v[10:11], v[2:3], 3, s[14:15]
	v_ashrrev_i32_e32 v21, 31, v20
	v_div_fixup_f64 v[2:3], v[14:15], v[8:9], -1.0
	v_add_u32_e32 v14, s4, v20
	v_lshl_add_u64 v[8:9], v[20:21], 3, s[14:15]
	v_ashrrev_i32_e32 v15, 31, v14
	v_cmp_ngt_f64_e64 s[0:1], |v[2:3]|, s[0:1]
	s_waitcnt vmcnt(0)
	scratch_store_dwordx2 off, v[18:19], off offset:304 ; 8-byte Folded Spill
	global_load_dwordx2 v[60:61], v[10:11], off
	global_load_dwordx2 v[122:123], v[8:9], off
	v_lshl_add_u64 v[8:9], v[14:15], 3, s[14:15]
	global_load_dwordx2 v[8:9], v[8:9], off
	s_waitcnt vmcnt(0)
	scratch_store_dwordx2 off, v[8:9], off offset:328 ; 8-byte Folded Spill
	v_add_u32_e32 v8, s4, v14
	v_ashrrev_i32_e32 v9, 31, v8
	v_lshl_add_u64 v[10:11], v[8:9], 3, s[14:15]
	v_add_u32_e32 v8, s4, v8
	v_ashrrev_i32_e32 v9, 31, v8
	global_load_dwordx2 v[108:109], v[10:11], off
	v_lshl_add_u64 v[10:11], v[8:9], 3, s[14:15]
	v_add_u32_e32 v8, s4, v8
	v_ashrrev_i32_e32 v9, 31, v8
	global_load_dwordx2 v[104:105], v[10:11], off
	;; [unrolled: 4-line block ×5, first 2 shown]
	v_lshl_add_u64 v[10:11], v[8:9], 3, s[14:15]
	global_load_dwordx2 v[10:11], v[10:11], off
	v_add_u32_e32 v8, s4, v8
	v_ashrrev_i32_e32 v9, 31, v8
	s_waitcnt vmcnt(0)
	scratch_store_dwordx2 off, v[10:11], off offset:352 ; 8-byte Folded Spill
	v_lshl_add_u64 v[10:11], v[8:9], 3, s[14:15]
	v_add_u32_e32 v8, s4, v8
	v_ashrrev_i32_e32 v9, 31, v8
	global_load_dwordx2 v[112:113], v[10:11], off
	v_lshl_add_u64 v[10:11], v[8:9], 3, s[14:15]
	global_load_dwordx2 v[10:11], v[10:11], off
	v_add_u32_e32 v8, s4, v8
	v_ashrrev_i32_e32 v9, 31, v8
	s_waitcnt vmcnt(0)
	scratch_store_dwordx2 off, v[10:11], off offset:360 ; 8-byte Folded Spill
	v_lshl_add_u64 v[10:11], v[8:9], 3, s[14:15]
	global_load_dwordx2 v[10:11], v[10:11], off
	v_add_u32_e32 v8, s4, v8
	v_ashrrev_i32_e32 v9, 31, v8
	s_waitcnt vmcnt(0)
	scratch_store_dwordx2 off, v[10:11], off offset:368 ; 8-byte Folded Spill
	;; [unrolled: 6-line block ×3, first 2 shown]
	v_lshl_add_u64 v[10:11], v[8:9], 3, s[14:15]
	v_add_u32_e32 v8, s4, v8
	v_ashrrev_i32_e32 v9, 31, v8
	global_load_dwordx2 v[88:89], v[10:11], off
	v_lshl_add_u64 v[10:11], v[8:9], 3, s[14:15]
	global_load_dwordx2 v[10:11], v[10:11], off
	v_add_u32_e32 v8, s4, v8
	v_ashrrev_i32_e32 v9, 31, v8
	s_waitcnt vmcnt(0)
	scratch_store_dwordx2 off, v[10:11], off offset:16 ; 8-byte Folded Spill
	v_lshl_add_u64 v[10:11], v[8:9], 3, s[14:15]
	v_add_u32_e32 v8, s4, v8
	v_ashrrev_i32_e32 v9, 31, v8
	global_load_dwordx2 v[42:43], v[10:11], off
	v_lshl_add_u64 v[10:11], v[8:9], 3, s[14:15]
	global_load_dwordx2 v[10:11], v[10:11], off
	v_add_u32_e32 v8, s4, v8
	v_ashrrev_i32_e32 v9, 31, v8
	s_waitcnt vmcnt(0)
	scratch_store_dwordx2 off, v[10:11], off offset:64 ; 8-byte Folded Spill
	v_lshl_add_u64 v[10:11], v[8:9], 3, s[14:15]
	global_load_dwordx2 v[10:11], v[10:11], off
	v_add_u32_e32 v8, s4, v8
	v_ashrrev_i32_e32 v9, 31, v8
	s_waitcnt vmcnt(0)
	scratch_store_dwordx2 off, v[10:11], off offset:72 ; 8-byte Folded Spill
	v_lshl_add_u64 v[10:11], v[8:9], 3, s[14:15]
	v_add_u32_e32 v8, s4, v8
	v_ashrrev_i32_e32 v9, 31, v8
	global_load_dwordx2 v[100:101], v[10:11], off
	v_lshl_add_u64 v[10:11], v[8:9], 3, s[14:15]
	global_load_dwordx2 v[10:11], v[10:11], off
	v_add_u32_e32 v8, s4, v8
	v_ashrrev_i32_e32 v9, 31, v8
	s_waitcnt vmcnt(0)
	scratch_store_dwordx2 off, v[10:11], off offset:208 ; 8-byte Folded Spill
	v_lshl_add_u64 v[10:11], v[8:9], 3, s[14:15]
	global_load_dwordx2 v[10:11], v[10:11], off
	v_add_u32_e32 v8, s4, v8
	v_ashrrev_i32_e32 v9, 31, v8
	s_waitcnt vmcnt(0)
	scratch_store_dwordx2 off, v[10:11], off offset:224 ; 8-byte Folded Spill
	;; [unrolled: 6-line block ×3, first 2 shown]
	v_lshl_add_u64 v[10:11], v[8:9], 3, s[14:15]
	global_load_dwordx2 v[10:11], v[10:11], off
	v_add_u32_e32 v8, s4, v8
	v_ashrrev_i32_e32 v9, 31, v8
	v_lshl_add_u64 v[8:9], v[8:9], 3, s[14:15]
	global_load_dwordx2 v[82:83], v[8:9], off
	s_waitcnt vmcnt(1)
	scratch_store_dwordx2 off, v[10:11], off offset:240 ; 8-byte Folded Spill
	global_load_dwordx2 v[98:99], v[24:25], off
	global_load_dwordx2 v[8:9], v[16:17], off
	s_waitcnt vmcnt(0)
	scratch_store_dwordx2 off, v[8:9], off offset:24 ; 8-byte Folded Spill
	global_load_dwordx2 v[70:71], v[78:79], off
	global_load_dwordx2 v[64:65], v[56:57], off
	;; [unrolled: 1-line block ×4, first 2 shown]
	s_nop 0
	global_load_dwordx2 v[8:9], v[94:95], off
	global_load_dwordx2 v[58:59], v[12:13], off
	;; [unrolled: 1-line block ×5, first 2 shown]
	s_nop 0
	scratch_store_dwordx2 off, v[72:73], off offset:248 ; 8-byte Folded Spill
	global_load_dwordx2 v[72:73], v[72:73], off
	s_nop 0
	scratch_store_dwordx2 off, v[110:111], off offset:320 ; 8-byte Folded Spill
	scratch_store_dwordx2 off, v[80:81], off offset:312 ; 8-byte Folded Spill
	;; [unrolled: 1-line block ×3, first 2 shown]
	s_waitcnt vmcnt(9)
	scratch_store_dwordx2 off, v[8:9], off  ; 8-byte Folded Spill
                                        ; implicit-def: $vgpr8_vgpr9
	s_and_saveexec_b64 s[2:3], s[0:1]
	s_xor_b64 s[0:1], exec, s[2:3]
; %bb.2:
	v_mul_f64 v[8:9], s[12:13], v[6:7]
                                        ; implicit-def: $vgpr2_vgpr3
                                        ; implicit-def: $vgpr6_vgpr7
; %bb.3:
	s_andn2_saveexec_b64 s[2:3], s[0:1]
	s_cbranch_execz .LBB0_5
; %bb.4:
	s_mov_b32 s0, 0x652b82fe
	v_mul_f64 v[8:9], s[12:13], v[2:3]
	s_mov_b32 s1, 0x3ff71547
	v_mul_f64 v[10:11], v[8:9], s[0:1]
	s_mov_b32 s0, 0xfefa39ef
	v_rndne_f64_e32 v[10:11], v[10:11]
	s_mov_b32 s1, 0xbfe62e42
	v_fma_f64 v[14:15], s[0:1], v[10:11], v[8:9]
	s_mov_b32 s0, 0x3b39803f
	s_mov_b32 s1, 0xbc7abc9e
	v_fmac_f64_e32 v[14:15], s[0:1], v[10:11]
	s_mov_b32 s0, 0x6a5dcb37
	v_mov_b32_e32 v18, 0xfca7ab0c
	v_mov_b32_e32 v19, 0x3e928af3
	s_mov_b32 s1, 0x3e5ade15
	v_fmac_f64_e32 v[18:19], s[0:1], v[14:15]
	v_mov_b32_e32 v34, 0x623fde64
	v_mov_b32_e32 v35, 0x3ec71dee
	v_fmac_f64_e32 v[34:35], v[14:15], v[18:19]
	v_mov_b32_e32 v18, 0x7c89e6b0
	v_mov_b32_e32 v19, 0x3efa0199
	;; [unrolled: 3-line block ×8, first 2 shown]
	v_fmac_f64_e32 v[18:19], v[14:15], v[34:35]
	s_mov_b32 s0, 0
	v_fma_f64 v[18:19], v[14:15], v[18:19], 1.0
	s_mov_b32 s1, 0x40900000
	v_fma_f64 v[14:15], v[14:15], v[18:19], 1.0
	v_cvt_i32_f64_e32 v10, v[10:11]
	v_cmp_nlt_f64_e32 vcc, s[0:1], v[8:9]
	s_mov_b32 s0, 0
	v_ldexp_f64 v[10:11], v[14:15], v10
	s_mov_b32 s1, 0xc090cc00
	v_add_f64 v[10:11], v[10:11], -1.0
	v_mov_b32_e32 v14, 0x7ff00000
	v_cmp_ngt_f64_e64 s[0:1], s[0:1], v[8:9]
	v_cndmask_b32_e32 v11, v14, v11, vcc
	v_mov_b32_e32 v14, 0xbff00000
	s_and_b64 vcc, s[0:1], vcc
	v_cndmask_b32_e64 v9, v14, v11, s[0:1]
	v_cndmask_b32_e32 v8, 0, v10, vcc
	v_mul_f64 v[6:7], v[6:7], v[8:9]
	v_div_scale_f64 v[8:9], s[0:1], v[2:3], v[2:3], v[6:7]
	v_rcp_f64_e32 v[10:11], v[8:9]
	s_nop 0
	v_fma_f64 v[14:15], -v[8:9], v[10:11], 1.0
	v_fmac_f64_e32 v[10:11], v[10:11], v[14:15]
	v_fma_f64 v[14:15], -v[8:9], v[10:11], 1.0
	v_fmac_f64_e32 v[10:11], v[10:11], v[14:15]
	v_div_scale_f64 v[14:15], vcc, v[6:7], v[2:3], v[6:7]
	v_mul_f64 v[18:19], v[14:15], v[10:11]
	v_fma_f64 v[8:9], -v[8:9], v[18:19], v[14:15]
	s_nop 1
	v_div_fmas_f64 v[8:9], v[8:9], v[10:11], v[18:19]
	v_div_fixup_f64 v[8:9], v[8:9], v[2:3], v[6:7]
.LBB0_5:
	s_or_b64 exec, exec, s[2:3]
	scratch_load_dwordx2 v[2:3], off, off offset:88 ; 8-byte Folded Reload
	s_mov_b32 s0, 0
	s_mov_b32 s1, 0x40380000
	;; [unrolled: 1-line block ×22, first 2 shown]
	s_waitcnt vmcnt(0)
	v_add_f64 v[2:3], v[2:3], v[8:9]
	global_store_dwordx2 v[26:27], v[2:3], off
	v_div_scale_f64 v[2:3], s[2:3], s[0:1], s[0:1], v[4:5]
	v_rcp_f64_e32 v[6:7], v[2:3]
	s_mov_b32 s2, 0x652b82fe
	s_mov_b32 s3, 0x3ff71547
	v_fma_f64 v[8:9], -v[2:3], v[6:7], 1.0
	v_fmac_f64_e32 v[6:7], v[6:7], v[8:9]
	v_fma_f64 v[8:9], -v[2:3], v[6:7], 1.0
	v_fmac_f64_e32 v[6:7], v[6:7], v[8:9]
	v_div_scale_f64 v[8:9], vcc, v[4:5], s[0:1], v[4:5]
	v_mul_f64 v[10:11], v[8:9], v[6:7]
	v_fma_f64 v[2:3], -v[2:3], v[10:11], v[8:9]
	s_nop 1
	v_div_fmas_f64 v[2:3], v[2:3], v[6:7], v[10:11]
	v_div_fixup_f64 v[2:3], v[2:3], s[0:1], v[4:5]
	s_mov_b32 s0, 0x55555555
	s_mov_b32 s1, 0x400d5555
	v_add_f64 v[6:7], v[2:3], s[0:1]
	v_mul_f64 v[2:3], v[6:7], s[2:3]
	v_rndne_f64_e32 v[8:9], v[2:3]
	s_mov_b32 s0, 0xfca7ab0c
	v_fma_f64 v[10:11], s[4:5], v[8:9], v[6:7]
	s_mov_b32 s1, 0x3e928af3
	v_fmac_f64_e32 v[10:11], s[6:7], v[8:9]
	v_mov_b64_e32 v[2:3], s[0:1]
	v_fma_f64 v[14:15], s[8:9], v[10:11], v[2:3]
	v_fma_f64 v[14:15], v[10:11], v[14:15], s[14:15]
	;; [unrolled: 1-line block ×9, first 2 shown]
	v_fma_f64 v[14:15], v[10:11], v[14:15], 1.0
	v_fma_f64 v[10:11], v[10:11], v[14:15], 1.0
	v_cvt_i32_f64_e32 v8, v[8:9]
	v_ldexp_f64 v[8:9], v[10:11], v8
	v_add_f64 v[8:9], v[8:9], 1.0
	v_div_scale_f64 v[10:11], s[0:1], v[8:9], v[8:9], 1.0
	v_rcp_f64_e32 v[14:15], v[10:11]
	v_cmp_ngt_f64_e64 s[0:1], s[26:27], v[6:7]
	v_fma_f64 v[18:19], -v[10:11], v[14:15], 1.0
	v_fmac_f64_e32 v[14:15], v[14:15], v[18:19]
	v_fma_f64 v[18:19], -v[10:11], v[14:15], 1.0
	v_fmac_f64_e32 v[14:15], v[14:15], v[18:19]
	v_div_scale_f64 v[18:19], vcc, 1.0, v[8:9], 1.0
	v_mul_f64 v[26:27], v[18:19], v[14:15]
	v_fma_f64 v[10:11], -v[10:11], v[26:27], v[18:19]
	s_nop 1
	v_div_fmas_f64 v[10:11], v[10:11], v[14:15], v[26:27]
	v_div_fixup_f64 v[8:9], v[10:11], v[8:9], 1.0
	v_cmp_nlt_f64_e32 vcc, s[24:25], v[6:7]
	v_mov_b32_e32 v7, 0x3ff00000
	s_nop 0
	v_cndmask_b32_e32 v9, 0, v9, vcc
	s_and_b64 vcc, s[0:1], vcc
	v_cndmask_b32_e64 v7, v7, v9, s[0:1]
	s_mov_b32 s0, 0
	s_mov_b32 s1, 0x40340000
	v_cndmask_b32_e32 v6, 0, v8, vcc
	v_div_scale_f64 v[8:9], s[36:37], s[0:1], s[0:1], v[4:5]
	v_rcp_f64_e32 v[10:11], v[8:9]
	s_mov_b32 s36, 0
	s_mov_b32 s37, 0xc0080000
	v_fma_f64 v[14:15], -v[8:9], v[10:11], 1.0
	v_fmac_f64_e32 v[10:11], v[10:11], v[14:15]
	v_fma_f64 v[14:15], -v[8:9], v[10:11], 1.0
	v_fmac_f64_e32 v[10:11], v[10:11], v[14:15]
	v_div_scale_f64 v[14:15], vcc, v[4:5], s[0:1], v[4:5]
	v_mul_f64 v[18:19], v[14:15], v[10:11]
	v_fma_f64 v[8:9], -v[8:9], v[18:19], v[14:15]
	s_nop 1
	v_div_fmas_f64 v[8:9], v[8:9], v[10:11], v[18:19]
	v_div_fixup_f64 v[26:27], v[8:9], s[0:1], v[4:5]
	v_add_f64 v[8:9], -v[26:27], s[36:37]
	v_mul_f64 v[10:11], v[8:9], s[2:3]
	v_rndne_f64_e32 v[10:11], v[10:11]
	v_fma_f64 v[14:15], s[4:5], v[10:11], v[8:9]
	v_fmac_f64_e32 v[14:15], s[6:7], v[10:11]
	v_fma_f64 v[18:19], s[8:9], v[14:15], v[2:3]
	v_fma_f64 v[18:19], v[14:15], v[18:19], s[14:15]
	;; [unrolled: 1-line block ×9, first 2 shown]
	v_fma_f64 v[18:19], v[14:15], v[18:19], 1.0
	v_fma_f64 v[14:15], v[14:15], v[18:19], 1.0
	v_cvt_i32_f64_e32 v10, v[10:11]
	v_ldexp_f64 v[10:11], v[14:15], v10
	s_mov_b32 s0, 0
	v_add_f64 v[10:11], v[10:11], 1.0
	s_mov_b32 s1, 0x40080000
	v_div_scale_f64 v[14:15], s[38:39], v[10:11], v[10:11], s[0:1]
	v_rcp_f64_e32 v[18:19], v[14:15]
	s_nop 0
	v_fma_f64 v[34:35], -v[14:15], v[18:19], 1.0
	v_fmac_f64_e32 v[18:19], v[18:19], v[34:35]
	v_fma_f64 v[34:35], -v[14:15], v[18:19], 1.0
	v_fmac_f64_e32 v[18:19], v[18:19], v[34:35]
	v_div_scale_f64 v[34:35], vcc, s[0:1], v[10:11], s[0:1]
	v_mul_f64 v[36:37], v[34:35], v[18:19]
	v_fma_f64 v[14:15], -v[14:15], v[36:37], v[34:35]
	s_nop 1
	v_div_fmas_f64 v[14:15], v[14:15], v[18:19], v[36:37]
	v_div_fixup_f64 v[10:11], v[14:15], v[10:11], s[0:1]
	v_cmp_nlt_f64_e32 vcc, s[24:25], v[8:9]
	v_cmp_ngt_f64_e64 s[0:1], s[26:27], v[8:9]
	v_mov_b32_e32 v9, 0x40080000
	v_cndmask_b32_e32 v11, 0, v11, vcc
	s_and_b64 vcc, s[0:1], vcc
	v_cndmask_b32_e32 v8, 0, v10, vcc
	v_cndmask_b32_e64 v9, v9, v11, s[0:1]
	v_add_f64 v[10:11], v[26:27], s[36:37]
	v_mul_f64 v[14:15], v[10:11], s[2:3]
	v_rndne_f64_e32 v[14:15], v[14:15]
	v_fma_f64 v[18:19], s[4:5], v[14:15], v[10:11]
	v_fmac_f64_e32 v[18:19], s[6:7], v[14:15]
	v_fmac_f64_e32 v[2:3], s[8:9], v[18:19]
	v_fma_f64 v[2:3], v[18:19], v[2:3], s[14:15]
	v_fma_f64 v[2:3], v[18:19], v[2:3], s[16:17]
	;; [unrolled: 1-line block ×8, first 2 shown]
	v_fma_f64 v[2:3], v[18:19], v[2:3], 1.0
	v_fma_f64 v[2:3], v[18:19], v[2:3], 1.0
	v_cvt_i32_f64_e32 v14, v[14:15]
	v_ldexp_f64 v[2:3], v[2:3], v14
	s_mov_b32 s0, 0x1eb851ec
	v_add_f64 v[2:3], v[2:3], 1.0
	s_mov_b32 s1, 0x3ff1eb85
	v_div_scale_f64 v[14:15], s[2:3], v[2:3], v[2:3], s[0:1]
	v_rcp_f64_e32 v[18:19], v[14:15]
	s_nop 0
	v_fma_f64 v[34:35], -v[14:15], v[18:19], 1.0
	v_fmac_f64_e32 v[18:19], v[18:19], v[34:35]
	v_fma_f64 v[34:35], -v[14:15], v[18:19], 1.0
	v_fmac_f64_e32 v[18:19], v[18:19], v[34:35]
	v_div_scale_f64 v[34:35], vcc, s[0:1], v[2:3], s[0:1]
	v_mul_f64 v[36:37], v[34:35], v[18:19]
	v_fma_f64 v[14:15], -v[14:15], v[36:37], v[34:35]
	s_nop 1
	v_div_fmas_f64 v[14:15], v[14:15], v[18:19], v[36:37]
	v_div_fixup_f64 v[2:3], v[14:15], v[2:3], s[0:1]
	v_cmp_nlt_f64_e32 vcc, s[24:25], v[10:11]
	s_nop 1
	v_cndmask_b32_e32 v2, 0, v2, vcc
	v_cndmask_b32_e32 v3, 0, v3, vcc
	v_cmp_ngt_f64_e32 vcc, s[26:27], v[10:11]
	v_mov_b32_e32 v10, 0x3ff1eb85
	s_nop 0
	v_cndmask_b32_e32 v3, v10, v3, vcc
	v_mov_b32_e32 v10, 0x1eb851ec
	v_cndmask_b32_e32 v2, v10, v2, vcc
	v_mul_f64 v[8:9], v[8:9], v[2:3]
	scratch_load_dwordx2 v[2:3], off, off offset:8 ; 8-byte Folded Reload
	s_waitcnt vmcnt(0)
	v_add_f64 v[2:3], v[6:7], -v[2:3]
	v_div_scale_f64 v[6:7], s[0:1], v[8:9], v[8:9], v[2:3]
	v_rcp_f64_e32 v[10:11], v[6:7]
	s_nop 0
	v_fma_f64 v[14:15], -v[6:7], v[10:11], 1.0
	v_fmac_f64_e32 v[10:11], v[10:11], v[14:15]
	v_fma_f64 v[14:15], -v[6:7], v[10:11], 1.0
	v_fmac_f64_e32 v[10:11], v[10:11], v[14:15]
	v_div_scale_f64 v[14:15], vcc, v[2:3], v[8:9], v[2:3]
	v_mul_f64 v[18:19], v[14:15], v[10:11]
	v_fma_f64 v[6:7], -v[6:7], v[18:19], v[14:15]
	s_nop 1
	v_div_fmas_f64 v[6:7], v[6:7], v[10:11], v[18:19]
	v_div_fixup_f64 v[2:3], v[6:7], v[8:9], v[2:3]
	v_div_scale_f64 v[6:7], s[0:1], v[8:9], v[8:9], -1.0
	v_rcp_f64_e32 v[10:11], v[6:7]
	s_mov_b32 s0, 0xe2308c3a
	s_mov_b32 s1, 0x3e45798e
	v_fma_f64 v[14:15], -v[6:7], v[10:11], 1.0
	v_fmac_f64_e32 v[10:11], v[10:11], v[14:15]
	v_fma_f64 v[14:15], -v[6:7], v[10:11], 1.0
	v_fmac_f64_e32 v[10:11], v[10:11], v[14:15]
	v_div_scale_f64 v[14:15], vcc, -1.0, v[8:9], -1.0
	v_mul_f64 v[18:19], v[14:15], v[10:11]
	v_fma_f64 v[6:7], -v[6:7], v[18:19], v[14:15]
	s_nop 1
	v_div_fmas_f64 v[6:7], v[6:7], v[10:11], v[18:19]
	v_div_fixup_f64 v[6:7], v[6:7], v[8:9], -1.0
	v_cmp_ngt_f64_e64 s[0:1], |v[6:7]|, s[0:1]
                                        ; implicit-def: $vgpr8_vgpr9
	s_and_saveexec_b64 s[2:3], s[0:1]
	s_xor_b64 s[0:1], exec, s[2:3]
; %bb.6:
	v_mul_f64 v[8:9], s[12:13], v[2:3]
                                        ; implicit-def: $vgpr6_vgpr7
                                        ; implicit-def: $vgpr2_vgpr3
; %bb.7:
	s_andn2_saveexec_b64 s[2:3], s[0:1]
	s_cbranch_execz .LBB0_9
; %bb.8:
	s_mov_b32 s0, 0x652b82fe
	v_mul_f64 v[8:9], s[12:13], v[6:7]
	s_mov_b32 s1, 0x3ff71547
	v_mul_f64 v[10:11], v[8:9], s[0:1]
	s_mov_b32 s0, 0xfefa39ef
	v_rndne_f64_e32 v[10:11], v[10:11]
	s_mov_b32 s1, 0xbfe62e42
	v_fma_f64 v[14:15], s[0:1], v[10:11], v[8:9]
	s_mov_b32 s0, 0x3b39803f
	s_mov_b32 s1, 0xbc7abc9e
	v_fmac_f64_e32 v[14:15], s[0:1], v[10:11]
	s_mov_b32 s0, 0x6a5dcb37
	v_mov_b32_e32 v18, 0xfca7ab0c
	v_mov_b32_e32 v19, 0x3e928af3
	s_mov_b32 s1, 0x3e5ade15
	v_fmac_f64_e32 v[18:19], s[0:1], v[14:15]
	v_mov_b32_e32 v34, 0x623fde64
	v_mov_b32_e32 v35, 0x3ec71dee
	v_fmac_f64_e32 v[34:35], v[14:15], v[18:19]
	v_mov_b32_e32 v18, 0x7c89e6b0
	v_mov_b32_e32 v19, 0x3efa0199
	;; [unrolled: 3-line block ×8, first 2 shown]
	v_fmac_f64_e32 v[18:19], v[14:15], v[34:35]
	s_mov_b32 s0, 0
	v_fma_f64 v[18:19], v[14:15], v[18:19], 1.0
	s_mov_b32 s1, 0x40900000
	v_fma_f64 v[14:15], v[14:15], v[18:19], 1.0
	v_cvt_i32_f64_e32 v10, v[10:11]
	v_cmp_nlt_f64_e32 vcc, s[0:1], v[8:9]
	s_mov_b32 s0, 0
	v_ldexp_f64 v[10:11], v[14:15], v10
	s_mov_b32 s1, 0xc090cc00
	v_add_f64 v[10:11], v[10:11], -1.0
	v_mov_b32_e32 v14, 0x7ff00000
	v_cmp_ngt_f64_e64 s[0:1], s[0:1], v[8:9]
	v_cndmask_b32_e32 v11, v14, v11, vcc
	v_mov_b32_e32 v14, 0xbff00000
	s_and_b64 vcc, s[0:1], vcc
	v_cndmask_b32_e64 v9, v14, v11, s[0:1]
	v_cndmask_b32_e32 v8, 0, v10, vcc
	v_mul_f64 v[2:3], v[2:3], v[8:9]
	v_div_scale_f64 v[8:9], s[0:1], v[6:7], v[6:7], v[2:3]
	v_rcp_f64_e32 v[10:11], v[8:9]
	s_nop 0
	v_fma_f64 v[14:15], -v[8:9], v[10:11], 1.0
	v_fmac_f64_e32 v[10:11], v[10:11], v[14:15]
	v_fma_f64 v[14:15], -v[8:9], v[10:11], 1.0
	v_fmac_f64_e32 v[10:11], v[10:11], v[14:15]
	v_div_scale_f64 v[14:15], vcc, v[2:3], v[6:7], v[2:3]
	v_mul_f64 v[18:19], v[14:15], v[10:11]
	v_fma_f64 v[8:9], -v[8:9], v[18:19], v[14:15]
	s_nop 1
	v_div_fmas_f64 v[8:9], v[8:9], v[10:11], v[18:19]
	v_div_fixup_f64 v[8:9], v[8:9], v[6:7], v[2:3]
.LBB0_9:
	s_or_b64 exec, exec, s[2:3]
	scratch_load_dwordx2 v[2:3], off, off offset:8 ; 8-byte Folded Reload
	s_mov_b32 s0, 0
	s_mov_b32 s1, 0xc02c0000
	;; [unrolled: 1-line block ×10, first 2 shown]
	s_waitcnt vmcnt(0)
	v_add_f64 v[2:3], v[2:3], v[8:9]
	global_store_dwordx2 v[84:85], v[2:3], off
	v_div_scale_f64 v[2:3], s[2:3], s[0:1], s[0:1], v[4:5]
	v_rcp_f64_e32 v[6:7], v[2:3]
	s_mov_b32 s2, 0x652b82fe
	s_mov_b32 s3, 0x3ff71547
	v_fma_f64 v[8:9], -v[2:3], v[6:7], 1.0
	v_fmac_f64_e32 v[6:7], v[6:7], v[8:9]
	v_fma_f64 v[8:9], -v[2:3], v[6:7], 1.0
	v_fmac_f64_e32 v[6:7], v[6:7], v[8:9]
	v_div_scale_f64 v[8:9], vcc, v[4:5], s[0:1], v[4:5]
	v_mul_f64 v[10:11], v[8:9], v[6:7]
	v_fma_f64 v[2:3], -v[2:3], v[10:11], v[8:9]
	s_nop 1
	v_div_fmas_f64 v[2:3], v[2:3], v[6:7], v[10:11]
	v_div_fixup_f64 v[2:3], v[2:3], s[0:1], v[4:5]
	s_mov_b32 s0, 0xb6db6db7
	s_mov_b32 s1, 0xbfd6db6d
	v_add_f64 v[6:7], v[2:3], s[0:1]
	v_mul_f64 v[2:3], v[6:7], s[2:3]
	v_rndne_f64_e32 v[8:9], v[2:3]
	s_mov_b32 s0, 0xfca7ab0c
	v_fma_f64 v[10:11], s[4:5], v[8:9], v[6:7]
	s_mov_b32 s1, 0x3e928af3
	v_fmac_f64_e32 v[10:11], s[6:7], v[8:9]
	v_mov_b64_e32 v[2:3], s[0:1]
	v_fma_f64 v[14:15], s[8:9], v[10:11], v[2:3]
	v_fma_f64 v[14:15], v[10:11], v[14:15], s[14:15]
	;; [unrolled: 1-line block ×9, first 2 shown]
	v_fma_f64 v[14:15], v[10:11], v[14:15], 1.0
	v_fma_f64 v[10:11], v[10:11], v[14:15], 1.0
	v_cvt_i32_f64_e32 v8, v[8:9]
	v_ldexp_f64 v[8:9], v[10:11], v8
	v_add_f64 v[8:9], v[8:9], 1.0
	v_div_scale_f64 v[10:11], s[0:1], v[8:9], v[8:9], 1.0
	v_rcp_f64_e32 v[14:15], v[10:11]
	v_cmp_ngt_f64_e64 s[0:1], s[30:31], v[6:7]
	v_fma_f64 v[18:19], -v[10:11], v[14:15], 1.0
	v_fmac_f64_e32 v[14:15], v[14:15], v[18:19]
	v_fma_f64 v[18:19], -v[10:11], v[14:15], 1.0
	v_fmac_f64_e32 v[14:15], v[14:15], v[18:19]
	v_div_scale_f64 v[18:19], vcc, 1.0, v[8:9], 1.0
	v_mul_f64 v[34:35], v[18:19], v[14:15]
	v_fma_f64 v[10:11], -v[10:11], v[34:35], v[18:19]
	s_nop 1
	v_div_fmas_f64 v[10:11], v[10:11], v[14:15], v[34:35]
	v_div_fixup_f64 v[8:9], v[10:11], v[8:9], 1.0
	v_cmp_nlt_f64_e32 vcc, s[28:29], v[6:7]
	s_nop 1
	v_cndmask_b32_e32 v9, 0, v9, vcc
	s_and_b64 vcc, s[0:1], vcc
	v_cndmask_b32_e32 v6, 0, v8, vcc
	v_mov_b32_e32 v8, 0x3ff00000
	v_cndmask_b32_e64 v7, v8, v9, s[0:1]
	s_mov_b32 s0, 0
	s_mov_b32 s1, 0x40180000
	v_div_scale_f64 v[10:11], s[36:37], s[0:1], s[0:1], v[4:5]
	v_rcp_f64_e32 v[14:15], v[10:11]
	s_mov_b32 s36, 0
	s_brev_b32 s37, 8
	v_fma_f64 v[18:19], -v[10:11], v[14:15], 1.0
	v_fmac_f64_e32 v[14:15], v[14:15], v[18:19]
	v_fma_f64 v[18:19], -v[10:11], v[14:15], 1.0
	v_fmac_f64_e32 v[14:15], v[14:15], v[18:19]
	v_div_scale_f64 v[18:19], vcc, v[4:5], s[0:1], v[4:5]
	v_mul_f64 v[34:35], v[18:19], v[14:15]
	v_fma_f64 v[10:11], -v[10:11], v[34:35], v[18:19]
	s_nop 1
	v_div_fmas_f64 v[10:11], v[10:11], v[14:15], v[34:35]
	v_div_fixup_f64 v[84:85], v[10:11], s[0:1], v[4:5]
	s_mov_b32 s1, 0x3feaaaaa
	s_mov_b32 s0, 0xaaaaaaab
	v_add_f64 v[10:11], -v[84:85], s[0:1]
	v_mul_f64 v[14:15], v[10:11], s[2:3]
	v_rndne_f64_e32 v[14:15], v[14:15]
	v_fma_f64 v[18:19], s[4:5], v[14:15], v[10:11]
	v_fmac_f64_e32 v[18:19], s[6:7], v[14:15]
	v_fma_f64 v[34:35], s[8:9], v[18:19], v[2:3]
	v_fma_f64 v[34:35], v[18:19], v[34:35], s[14:15]
	;; [unrolled: 1-line block ×9, first 2 shown]
	v_fma_f64 v[34:35], v[18:19], v[34:35], 1.0
	v_fma_f64 v[18:19], v[18:19], v[34:35], 1.0
	v_cvt_i32_f64_e32 v9, v[14:15]
	v_ldexp_f64 v[14:15], v[18:19], v9
	v_add_f64 v[14:15], v[14:15], 1.0
	v_cmp_nlt_f64_e32 vcc, s[28:29], v[10:11]
	v_mov_b32_e32 v9, 0x7ff00000
	s_mov_b32 s1, 0xc002aaaa
	v_cndmask_b32_e32 v15, v9, v15, vcc
	v_cndmask_b32_e32 v14, 0, v14, vcc
	v_cmp_gt_f64_e32 vcc, s[36:37], v[14:15]
	v_mov_b32_e32 v9, 0x100
	s_mov_b32 s36, 0
	v_cndmask_b32_e32 v9, 0, v9, vcc
	v_ldexp_f64 v[14:15], v[14:15], v9
	v_rsq_f64_e32 v[18:19], v[14:15]
	v_mov_b32_e32 v9, 0xffffff80
	v_cndmask_b32_e32 v9, 0, v9, vcc
	s_mov_b32 s37, 0x4095e000
	v_mul_f64 v[34:35], v[14:15], v[18:19]
	v_mul_f64 v[18:19], v[18:19], 0.5
	v_fma_f64 v[36:37], -v[18:19], v[34:35], 0.5
	v_fmac_f64_e32 v[34:35], v[34:35], v[36:37]
	v_fma_f64 v[44:45], -v[34:35], v[34:35], v[14:15]
	v_fmac_f64_e32 v[18:19], v[18:19], v[36:37]
	v_fmac_f64_e32 v[34:35], v[44:45], v[18:19]
	v_fma_f64 v[36:37], -v[34:35], v[34:35], v[14:15]
	v_fmac_f64_e32 v[34:35], v[36:37], v[18:19]
	v_ldexp_f64 v[18:19], v[34:35], v9
	v_mov_b32_e32 v9, 0x260
	v_cmp_class_f64_e32 vcc, v[14:15], v9
	v_mov_b32_e32 v9, 0x4095e000
	s_nop 0
	v_cndmask_b32_e32 v15, v19, v15, vcc
	v_cndmask_b32_e32 v14, v18, v14, vcc
	v_div_scale_f64 v[18:19], s[38:39], v[14:15], v[14:15], s[36:37]
	v_rcp_f64_e32 v[34:35], v[18:19]
	s_nop 0
	v_fma_f64 v[36:37], -v[18:19], v[34:35], 1.0
	v_fmac_f64_e32 v[34:35], v[34:35], v[36:37]
	v_fma_f64 v[36:37], -v[18:19], v[34:35], 1.0
	v_fmac_f64_e32 v[34:35], v[34:35], v[36:37]
	v_div_scale_f64 v[36:37], vcc, s[36:37], v[14:15], s[36:37]
	v_mul_f64 v[44:45], v[36:37], v[34:35]
	v_fma_f64 v[18:19], -v[18:19], v[44:45], v[36:37]
	s_nop 1
	v_div_fmas_f64 v[18:19], v[18:19], v[34:35], v[44:45]
	v_div_fixup_f64 v[14:15], v[18:19], v[14:15], s[36:37]
	s_mov_b32 s36, 0
	v_cmp_ngt_f64_e32 vcc, s[30:31], v[10:11]
	s_mov_b32 s37, 0x402e0000
	s_nop 0
	v_cndmask_b32_e32 v11, v9, v15, vcc
	v_cndmask_b32_e32 v10, 0, v14, vcc
	v_div_scale_f64 v[14:15], s[38:39], s[36:37], s[36:37], v[4:5]
	v_rcp_f64_e32 v[18:19], v[14:15]
	s_nop 0
	v_fma_f64 v[34:35], -v[14:15], v[18:19], 1.0
	v_fmac_f64_e32 v[18:19], v[18:19], v[34:35]
	v_fma_f64 v[34:35], -v[14:15], v[18:19], 1.0
	v_fmac_f64_e32 v[18:19], v[18:19], v[34:35]
	v_div_scale_f64 v[34:35], vcc, v[4:5], s[36:37], v[4:5]
	v_mul_f64 v[36:37], v[34:35], v[18:19]
	v_fma_f64 v[14:15], -v[14:15], v[36:37], v[34:35]
	s_nop 1
	v_div_fmas_f64 v[14:15], v[14:15], v[18:19], v[36:37]
	v_div_fixup_f64 v[14:15], v[14:15], s[36:37], v[4:5]
	v_add_f64 v[14:15], v[14:15], s[0:1]
	v_mul_f64 v[18:19], v[14:15], s[2:3]
	v_rndne_f64_e32 v[18:19], v[18:19]
	v_fma_f64 v[34:35], s[4:5], v[18:19], v[14:15]
	v_fmac_f64_e32 v[34:35], s[6:7], v[18:19]
	v_fmac_f64_e32 v[2:3], s[8:9], v[34:35]
	v_fma_f64 v[2:3], v[34:35], v[2:3], s[14:15]
	v_fma_f64 v[2:3], v[34:35], v[2:3], s[16:17]
	;; [unrolled: 1-line block ×8, first 2 shown]
	v_fma_f64 v[2:3], v[34:35], v[2:3], 1.0
	v_fma_f64 v[2:3], v[34:35], v[2:3], 1.0
	v_cvt_i32_f64_e32 v9, v[18:19]
	v_ldexp_f64 v[2:3], v[2:3], v9
	v_add_f64 v[2:3], v[2:3], 1.0
	v_div_scale_f64 v[18:19], s[0:1], v[2:3], v[2:3], 1.0
	v_rcp_f64_e32 v[34:35], v[18:19]
	v_cmp_ngt_f64_e64 s[0:1], s[30:31], v[14:15]
	v_fma_f64 v[36:37], -v[18:19], v[34:35], 1.0
	v_fmac_f64_e32 v[34:35], v[34:35], v[36:37]
	v_fma_f64 v[36:37], -v[18:19], v[34:35], 1.0
	v_fmac_f64_e32 v[34:35], v[34:35], v[36:37]
	v_div_scale_f64 v[36:37], vcc, 1.0, v[2:3], 1.0
	v_mul_f64 v[44:45], v[36:37], v[34:35]
	v_fma_f64 v[18:19], -v[18:19], v[44:45], v[36:37]
	s_nop 1
	v_div_fmas_f64 v[18:19], v[18:19], v[34:35], v[44:45]
	v_div_fixup_f64 v[2:3], v[18:19], v[2:3], 1.0
	v_cmp_nlt_f64_e32 vcc, s[28:29], v[14:15]
	s_nop 1
	v_cndmask_b32_e32 v3, 0, v3, vcc
	s_and_b64 vcc, s[0:1], vcc
	v_cndmask_b32_e64 v3, v8, v3, s[0:1]
	v_mov_b32_e32 v8, 0
	v_cndmask_b32_e32 v2, 0, v2, vcc
	v_mov_b32_e32 v9, 0x40540000
	v_fmac_f64_e32 v[8:9], v[2:3], v[10:11]
	scratch_load_dwordx2 v[2:3], off, off offset:56 ; 8-byte Folded Reload
	s_waitcnt vmcnt(0)
	v_add_f64 v[2:3], v[6:7], -v[2:3]
	v_div_scale_f64 v[6:7], s[0:1], v[8:9], v[8:9], v[2:3]
	v_rcp_f64_e32 v[10:11], v[6:7]
	s_nop 0
	v_fma_f64 v[14:15], -v[6:7], v[10:11], 1.0
	v_fmac_f64_e32 v[10:11], v[10:11], v[14:15]
	v_fma_f64 v[14:15], -v[6:7], v[10:11], 1.0
	v_fmac_f64_e32 v[10:11], v[10:11], v[14:15]
	v_div_scale_f64 v[14:15], vcc, v[2:3], v[8:9], v[2:3]
	v_mul_f64 v[18:19], v[14:15], v[10:11]
	v_fma_f64 v[6:7], -v[6:7], v[18:19], v[14:15]
	s_nop 1
	v_div_fmas_f64 v[6:7], v[6:7], v[10:11], v[18:19]
	v_div_fixup_f64 v[2:3], v[6:7], v[8:9], v[2:3]
	v_div_scale_f64 v[6:7], s[0:1], v[8:9], v[8:9], -1.0
	v_rcp_f64_e32 v[10:11], v[6:7]
	s_mov_b32 s0, 0xe2308c3a
	s_mov_b32 s1, 0x3e45798e
	v_fma_f64 v[14:15], -v[6:7], v[10:11], 1.0
	v_fmac_f64_e32 v[10:11], v[10:11], v[14:15]
	v_fma_f64 v[14:15], -v[6:7], v[10:11], 1.0
	v_fmac_f64_e32 v[10:11], v[10:11], v[14:15]
	v_div_scale_f64 v[14:15], vcc, -1.0, v[8:9], -1.0
	v_mul_f64 v[18:19], v[14:15], v[10:11]
	v_fma_f64 v[6:7], -v[6:7], v[18:19], v[14:15]
	s_nop 1
	v_div_fmas_f64 v[6:7], v[6:7], v[10:11], v[18:19]
	v_div_fixup_f64 v[6:7], v[6:7], v[8:9], -1.0
	v_cmp_ngt_f64_e64 s[0:1], |v[6:7]|, s[0:1]
                                        ; implicit-def: $vgpr8_vgpr9
	s_and_saveexec_b64 s[2:3], s[0:1]
	s_xor_b64 s[0:1], exec, s[2:3]
; %bb.10:
	v_mul_f64 v[8:9], s[12:13], v[2:3]
                                        ; implicit-def: $vgpr6_vgpr7
                                        ; implicit-def: $vgpr2_vgpr3
; %bb.11:
	s_andn2_saveexec_b64 s[2:3], s[0:1]
	s_cbranch_execz .LBB0_13
; %bb.12:
	s_mov_b32 s0, 0x652b82fe
	v_mul_f64 v[8:9], s[12:13], v[6:7]
	s_mov_b32 s1, 0x3ff71547
	v_mul_f64 v[10:11], v[8:9], s[0:1]
	s_mov_b32 s0, 0xfefa39ef
	v_rndne_f64_e32 v[10:11], v[10:11]
	s_mov_b32 s1, 0xbfe62e42
	v_fma_f64 v[14:15], s[0:1], v[10:11], v[8:9]
	s_mov_b32 s0, 0x3b39803f
	s_mov_b32 s1, 0xbc7abc9e
	v_fmac_f64_e32 v[14:15], s[0:1], v[10:11]
	s_mov_b32 s0, 0x6a5dcb37
	v_mov_b32_e32 v18, 0xfca7ab0c
	v_mov_b32_e32 v19, 0x3e928af3
	s_mov_b32 s1, 0x3e5ade15
	v_fmac_f64_e32 v[18:19], s[0:1], v[14:15]
	v_mov_b32_e32 v34, 0x623fde64
	v_mov_b32_e32 v35, 0x3ec71dee
	v_fmac_f64_e32 v[34:35], v[14:15], v[18:19]
	v_mov_b32_e32 v18, 0x7c89e6b0
	v_mov_b32_e32 v19, 0x3efa0199
	v_fmac_f64_e32 v[18:19], v[14:15], v[34:35]
	v_mov_b32_e32 v34, 0x14761f6e
	v_mov_b32_e32 v35, 0x3f2a01a0
	v_fmac_f64_e32 v[34:35], v[14:15], v[18:19]
	v_mov_b32_e32 v18, 0x1852b7b0
	v_mov_b32_e32 v19, 0x3f56c16c
	v_fmac_f64_e32 v[18:19], v[14:15], v[34:35]
	v_mov_b32_e32 v34, 0x11122322
	v_mov_b32_e32 v35, 0x3f811111
	v_fmac_f64_e32 v[34:35], v[14:15], v[18:19]
	v_mov_b32_e32 v18, 0x555502a1
	v_mov_b32_e32 v19, 0x3fa55555
	v_fmac_f64_e32 v[18:19], v[14:15], v[34:35]
	v_mov_b32_e32 v34, 0x55555511
	v_mov_b32_e32 v35, 0x3fc55555
	v_fmac_f64_e32 v[34:35], v[14:15], v[18:19]
	v_mov_b32_e32 v18, 11
	v_mov_b32_e32 v19, 0x3fe00000
	v_fmac_f64_e32 v[18:19], v[14:15], v[34:35]
	s_mov_b32 s0, 0
	v_fma_f64 v[18:19], v[14:15], v[18:19], 1.0
	s_mov_b32 s1, 0x40900000
	v_fma_f64 v[14:15], v[14:15], v[18:19], 1.0
	v_cvt_i32_f64_e32 v10, v[10:11]
	v_cmp_nlt_f64_e32 vcc, s[0:1], v[8:9]
	s_mov_b32 s0, 0
	v_ldexp_f64 v[10:11], v[14:15], v10
	s_mov_b32 s1, 0xc090cc00
	v_add_f64 v[10:11], v[10:11], -1.0
	v_mov_b32_e32 v14, 0x7ff00000
	v_cmp_ngt_f64_e64 s[0:1], s[0:1], v[8:9]
	v_cndmask_b32_e32 v11, v14, v11, vcc
	v_mov_b32_e32 v14, 0xbff00000
	s_and_b64 vcc, s[0:1], vcc
	v_cndmask_b32_e64 v9, v14, v11, s[0:1]
	v_cndmask_b32_e32 v8, 0, v10, vcc
	v_mul_f64 v[2:3], v[2:3], v[8:9]
	v_div_scale_f64 v[8:9], s[0:1], v[6:7], v[6:7], v[2:3]
	v_rcp_f64_e32 v[10:11], v[8:9]
	s_nop 0
	v_fma_f64 v[14:15], -v[8:9], v[10:11], 1.0
	v_fmac_f64_e32 v[10:11], v[10:11], v[14:15]
	v_fma_f64 v[14:15], -v[8:9], v[10:11], 1.0
	v_fmac_f64_e32 v[10:11], v[10:11], v[14:15]
	v_div_scale_f64 v[14:15], vcc, v[2:3], v[6:7], v[2:3]
	v_mul_f64 v[18:19], v[14:15], v[10:11]
	v_fma_f64 v[8:9], -v[8:9], v[18:19], v[14:15]
	s_nop 1
	v_div_fmas_f64 v[8:9], v[8:9], v[10:11], v[18:19]
	v_div_fixup_f64 v[8:9], v[8:9], v[6:7], v[2:3]
.LBB0_13:
	s_or_b64 exec, exec, s[2:3]
	scratch_load_dwordx2 v[2:3], off, off offset:56 ; 8-byte Folded Reload
	s_mov_b32 s0, 0xf8a106f3
	s_mov_b32 s1, 0xbfbc5995
	;; [unrolled: 1-line block ×3, first 2 shown]
	v_mul_f64 v[6:7], v[4:5], s[0:1]
	s_mov_b32 s3, 0x3ff71547
	s_mov_b32 s0, 0xfca7ab0c
	;; [unrolled: 1-line block ×11, first 2 shown]
	v_cmp_nlt_f64_e32 vcc, s[24:25], v[6:7]
	v_mov_b32_e32 v20, 0x3ff00000
	v_mov_b32_e32 v21, 0x9999999a
	s_waitcnt vmcnt(0)
	v_add_f64 v[2:3], v[2:3], v[8:9]
	global_store_dwordx2 v[22:23], v[2:3], off
	v_mul_f64 v[2:3], v[6:7], s[2:3]
	v_rndne_f64_e32 v[8:9], v[2:3]
	v_fma_f64 v[10:11], s[4:5], v[8:9], v[6:7]
	v_fmac_f64_e32 v[10:11], s[6:7], v[8:9]
	v_mov_b64_e32 v[2:3], s[0:1]
	v_fma_f64 v[14:15], s[8:9], v[10:11], v[2:3]
	v_fma_f64 v[14:15], v[10:11], v[14:15], s[14:15]
	;; [unrolled: 1-line block ×9, first 2 shown]
	v_fma_f64 v[14:15], v[10:11], v[14:15], 1.0
	v_fma_f64 v[10:11], v[10:11], v[14:15], 1.0
	v_cvt_i32_f64_e32 v8, v[8:9]
	s_mov_b32 s0, 0x9f942391
	v_ldexp_f64 v[8:9], v[10:11], v8
	s_mov_b32 s1, 0x3f5e2ecb
	v_fma_f64 v[8:9], v[8:9], s[0:1], 1.0
	v_mov_b32_e32 v10, 0x7ff00000
	v_cmp_ngt_f64_e64 s[0:1], s[28:29], v[6:7]
	v_cndmask_b32_e32 v9, v10, v9, vcc
	s_and_b64 vcc, s[0:1], vcc
	v_cndmask_b32_e32 v6, 0, v8, vcc
	v_cndmask_b32_e64 v7, v20, v9, s[0:1]
	v_mul_f64 v[6:7], v[6:7], v[6:7]
	v_div_scale_f64 v[8:9], s[0:1], v[6:7], v[6:7], 1.0
	v_rcp_f64_e32 v[10:11], v[8:9]
	s_mov_b32 s0, 0
	s_mov_b32 s1, 0x40140000
	v_fma_f64 v[14:15], -v[8:9], v[10:11], 1.0
	v_fmac_f64_e32 v[10:11], v[10:11], v[14:15]
	v_fma_f64 v[14:15], -v[8:9], v[10:11], 1.0
	v_fmac_f64_e32 v[10:11], v[10:11], v[14:15]
	v_div_scale_f64 v[14:15], vcc, 1.0, v[6:7], 1.0
	v_mul_f64 v[18:19], v[14:15], v[10:11]
	v_fma_f64 v[8:9], -v[8:9], v[18:19], v[14:15]
	s_nop 1
	v_div_fmas_f64 v[8:9], v[8:9], v[10:11], v[18:19]
	v_div_fixup_f64 v[6:7], v[8:9], v[6:7], 1.0
	v_div_scale_f64 v[8:9], s[36:37], s[0:1], s[0:1], v[4:5]
	v_rcp_f64_e32 v[10:11], v[8:9]
	s_nop 0
	v_fma_f64 v[14:15], -v[8:9], v[10:11], 1.0
	v_fmac_f64_e32 v[10:11], v[10:11], v[14:15]
	v_fma_f64 v[14:15], -v[8:9], v[10:11], 1.0
	v_fmac_f64_e32 v[10:11], v[10:11], v[14:15]
	v_div_scale_f64 v[14:15], vcc, v[4:5], s[0:1], v[4:5]
	v_mul_f64 v[18:19], v[14:15], v[10:11]
	v_fma_f64 v[8:9], -v[8:9], v[18:19], v[14:15]
	s_nop 1
	v_div_fmas_f64 v[8:9], v[8:9], v[10:11], v[18:19]
	v_div_fixup_f64 v[22:23], v[8:9], s[0:1], v[4:5]
	s_mov_b32 s0, 0
	s_mov_b32 s1, 0xc0280000
	v_add_f64 v[8:9], -v[22:23], s[0:1]
	v_mul_f64 v[10:11], v[8:9], s[2:3]
	v_rndne_f64_e32 v[10:11], v[10:11]
	v_fma_f64 v[14:15], s[4:5], v[10:11], v[8:9]
	v_fmac_f64_e32 v[14:15], s[6:7], v[10:11]
	v_fma_f64 v[18:19], s[8:9], v[14:15], v[2:3]
	v_fma_f64 v[18:19], v[14:15], v[18:19], s[14:15]
	;; [unrolled: 1-line block ×9, first 2 shown]
	v_fma_f64 v[18:19], v[14:15], v[18:19], 1.0
	v_fma_f64 v[14:15], v[14:15], v[18:19], 1.0
	v_cvt_i32_f64_e32 v10, v[10:11]
	v_ldexp_f64 v[10:11], v[14:15], v10
	v_add_f64 v[10:11], v[10:11], 1.0
	v_div_scale_f64 v[14:15], s[0:1], v[10:11], v[10:11], 1.0
	v_rcp_f64_e32 v[18:19], v[14:15]
	v_cmp_ngt_f64_e64 s[0:1], s[28:29], v[8:9]
	v_fma_f64 v[34:35], -v[14:15], v[18:19], 1.0
	v_fmac_f64_e32 v[18:19], v[18:19], v[34:35]
	v_fma_f64 v[34:35], -v[14:15], v[18:19], 1.0
	v_fmac_f64_e32 v[18:19], v[18:19], v[34:35]
	v_div_scale_f64 v[34:35], vcc, 1.0, v[10:11], 1.0
	v_mul_f64 v[36:37], v[34:35], v[18:19]
	v_fma_f64 v[14:15], -v[14:15], v[36:37], v[34:35]
	s_nop 1
	v_div_fmas_f64 v[14:15], v[14:15], v[18:19], v[36:37]
	v_div_fixup_f64 v[10:11], v[14:15], v[10:11], 1.0
	v_cmp_nlt_f64_e32 vcc, s[24:25], v[8:9]
	s_nop 1
	v_cndmask_b32_e32 v11, 0, v11, vcc
	s_and_b64 vcc, s[0:1], vcc
	v_cndmask_b32_e64 v9, v20, v11, s[0:1]
	s_mov_b32 s0, 0
	s_mov_b32 s1, 0x401c0000
	v_cndmask_b32_e32 v8, 0, v10, vcc
	v_add_f64 v[10:11], v[22:23], s[0:1]
	v_mul_f64 v[14:15], v[10:11], s[2:3]
	v_rndne_f64_e32 v[14:15], v[14:15]
	v_fma_f64 v[18:19], s[4:5], v[14:15], v[10:11]
	v_fmac_f64_e32 v[18:19], s[6:7], v[14:15]
	v_fma_f64 v[34:35], s[8:9], v[18:19], v[2:3]
	v_fma_f64 v[34:35], v[18:19], v[34:35], s[14:15]
	;; [unrolled: 1-line block ×9, first 2 shown]
	v_fma_f64 v[34:35], v[18:19], v[34:35], 1.0
	v_fma_f64 v[18:19], v[18:19], v[34:35], 1.0
	v_cvt_i32_f64_e32 v14, v[14:15]
	v_ldexp_f64 v[14:15], v[18:19], v14
	s_mov_b32 s0, 0x9999999a
	v_add_f64 v[14:15], v[14:15], 1.0
	s_mov_b32 s1, 0x3fb99999
	v_div_scale_f64 v[18:19], s[36:37], v[14:15], v[14:15], s[0:1]
	v_rcp_f64_e32 v[34:35], v[18:19]
	s_mov_b32 s36, 0
	v_mov_b32_e32 v20, 0x3fb99999
	s_mov_b32 s37, 0x40690000
	v_fma_f64 v[36:37], -v[18:19], v[34:35], 1.0
	v_fmac_f64_e32 v[34:35], v[34:35], v[36:37]
	v_fma_f64 v[36:37], -v[18:19], v[34:35], 1.0
	v_fmac_f64_e32 v[34:35], v[34:35], v[36:37]
	v_div_scale_f64 v[36:37], vcc, s[0:1], v[14:15], s[0:1]
	v_mul_f64 v[44:45], v[36:37], v[34:35]
	v_fma_f64 v[18:19], -v[18:19], v[44:45], v[36:37]
	s_nop 1
	v_div_fmas_f64 v[18:19], v[18:19], v[34:35], v[44:45]
	v_div_fixup_f64 v[14:15], v[18:19], v[14:15], s[0:1]
	v_cmp_nlt_f64_e32 vcc, s[24:25], v[10:11]
	s_nop 1
	v_cndmask_b32_e32 v14, 0, v14, vcc
	v_cndmask_b32_e32 v15, 0, v15, vcc
	v_cmp_ngt_f64_e32 vcc, s[28:29], v[10:11]
	s_nop 1
	v_cndmask_b32_e32 v11, v20, v15, vcc
	v_cndmask_b32_e32 v10, v21, v14, vcc
	v_div_scale_f64 v[14:15], s[38:39], s[36:37], s[36:37], v[4:5]
	v_rcp_f64_e32 v[18:19], v[14:15]
	s_nop 0
	v_fma_f64 v[34:35], -v[14:15], v[18:19], 1.0
	v_fmac_f64_e32 v[18:19], v[18:19], v[34:35]
	v_fma_f64 v[34:35], -v[14:15], v[18:19], 1.0
	v_fmac_f64_e32 v[18:19], v[18:19], v[34:35]
	v_div_scale_f64 v[34:35], vcc, v[4:5], s[36:37], v[4:5]
	v_mul_f64 v[36:37], v[34:35], v[18:19]
	v_fma_f64 v[14:15], -v[14:15], v[36:37], v[34:35]
	s_nop 1
	v_div_fmas_f64 v[14:15], v[14:15], v[18:19], v[36:37]
	v_div_fixup_f64 v[14:15], v[14:15], s[36:37], v[4:5]
	s_mov_b32 s36, 0
	s_mov_b32 s37, 0xbfd00000
	v_add_f64 v[14:15], v[14:15], s[36:37]
	v_mul_f64 v[18:19], v[14:15], s[2:3]
	v_rndne_f64_e32 v[18:19], v[18:19]
	v_fma_f64 v[34:35], s[4:5], v[18:19], v[14:15]
	v_fmac_f64_e32 v[34:35], s[6:7], v[18:19]
	v_fmac_f64_e32 v[2:3], s[8:9], v[34:35]
	v_fma_f64 v[2:3], v[34:35], v[2:3], s[14:15]
	v_fma_f64 v[2:3], v[34:35], v[2:3], s[16:17]
	;; [unrolled: 1-line block ×8, first 2 shown]
	v_fma_f64 v[2:3], v[34:35], v[2:3], 1.0
	v_fma_f64 v[2:3], v[34:35], v[2:3], 1.0
	v_cvt_i32_f64_e32 v18, v[18:19]
	v_ldexp_f64 v[2:3], v[2:3], v18
	v_add_f64 v[2:3], v[2:3], 1.0
	v_div_scale_f64 v[18:19], s[2:3], v[2:3], v[2:3], s[0:1]
	v_rcp_f64_e32 v[34:35], v[18:19]
	s_nop 0
	v_fma_f64 v[36:37], -v[18:19], v[34:35], 1.0
	v_fmac_f64_e32 v[34:35], v[34:35], v[36:37]
	v_fma_f64 v[36:37], -v[18:19], v[34:35], 1.0
	v_fmac_f64_e32 v[34:35], v[34:35], v[36:37]
	v_div_scale_f64 v[36:37], vcc, s[0:1], v[2:3], s[0:1]
	v_mul_f64 v[44:45], v[36:37], v[34:35]
	v_fma_f64 v[18:19], -v[18:19], v[44:45], v[36:37]
	s_nop 1
	v_div_fmas_f64 v[18:19], v[18:19], v[34:35], v[44:45]
	v_div_fixup_f64 v[2:3], v[18:19], v[2:3], s[0:1]
	v_cmp_nlt_f64_e32 vcc, s[24:25], v[14:15]
	s_nop 1
	v_cndmask_b32_e32 v2, 0, v2, vcc
	v_cndmask_b32_e32 v3, 0, v3, vcc
	v_cmp_ngt_f64_e32 vcc, s[28:29], v[14:15]
	s_nop 1
	v_cndmask_b32_e32 v3, v20, v3, vcc
	v_cndmask_b32_e32 v2, v21, v2, vcc
	v_add_f64 v[2:3], v[10:11], v[2:3]
	v_mul_f64 v[8:9], v[8:9], v[2:3]
	scratch_load_dwordx2 v[2:3], off, off offset:80 ; 8-byte Folded Reload
	s_waitcnt vmcnt(0)
	v_add_f64 v[2:3], v[6:7], -v[2:3]
	v_div_scale_f64 v[6:7], s[0:1], v[8:9], v[8:9], v[2:3]
	v_rcp_f64_e32 v[10:11], v[6:7]
	s_nop 0
	v_fma_f64 v[14:15], -v[6:7], v[10:11], 1.0
	v_fmac_f64_e32 v[10:11], v[10:11], v[14:15]
	v_fma_f64 v[14:15], -v[6:7], v[10:11], 1.0
	v_fmac_f64_e32 v[10:11], v[10:11], v[14:15]
	v_div_scale_f64 v[14:15], vcc, v[2:3], v[8:9], v[2:3]
	v_mul_f64 v[18:19], v[14:15], v[10:11]
	v_fma_f64 v[6:7], -v[6:7], v[18:19], v[14:15]
	s_nop 1
	v_div_fmas_f64 v[6:7], v[6:7], v[10:11], v[18:19]
	v_div_fixup_f64 v[2:3], v[6:7], v[8:9], v[2:3]
	v_div_scale_f64 v[6:7], s[0:1], v[8:9], v[8:9], -1.0
	v_rcp_f64_e32 v[10:11], v[6:7]
	s_mov_b32 s0, 0xe2308c3a
	s_mov_b32 s1, 0x3e45798e
	v_fma_f64 v[14:15], -v[6:7], v[10:11], 1.0
	v_fmac_f64_e32 v[10:11], v[10:11], v[14:15]
	v_fma_f64 v[14:15], -v[6:7], v[10:11], 1.0
	v_fmac_f64_e32 v[10:11], v[10:11], v[14:15]
	v_div_scale_f64 v[14:15], vcc, -1.0, v[8:9], -1.0
	v_mul_f64 v[18:19], v[14:15], v[10:11]
	v_fma_f64 v[6:7], -v[6:7], v[18:19], v[14:15]
	s_nop 1
	v_div_fmas_f64 v[6:7], v[6:7], v[10:11], v[18:19]
	v_div_fixup_f64 v[6:7], v[6:7], v[8:9], -1.0
	v_cmp_ngt_f64_e64 s[0:1], |v[6:7]|, s[0:1]
                                        ; implicit-def: $vgpr8_vgpr9
	s_and_saveexec_b64 s[2:3], s[0:1]
	s_xor_b64 s[0:1], exec, s[2:3]
; %bb.14:
	v_mul_f64 v[8:9], s[12:13], v[2:3]
                                        ; implicit-def: $vgpr6_vgpr7
                                        ; implicit-def: $vgpr2_vgpr3
; %bb.15:
	s_andn2_saveexec_b64 s[2:3], s[0:1]
	s_cbranch_execz .LBB0_17
; %bb.16:
	s_mov_b32 s0, 0x652b82fe
	v_mul_f64 v[8:9], s[12:13], v[6:7]
	s_mov_b32 s1, 0x3ff71547
	v_mul_f64 v[10:11], v[8:9], s[0:1]
	s_mov_b32 s0, 0xfefa39ef
	v_rndne_f64_e32 v[10:11], v[10:11]
	s_mov_b32 s1, 0xbfe62e42
	v_fma_f64 v[14:15], s[0:1], v[10:11], v[8:9]
	s_mov_b32 s0, 0x3b39803f
	s_mov_b32 s1, 0xbc7abc9e
	v_fmac_f64_e32 v[14:15], s[0:1], v[10:11]
	s_mov_b32 s0, 0x6a5dcb37
	v_mov_b32_e32 v18, 0xfca7ab0c
	v_mov_b32_e32 v19, 0x3e928af3
	s_mov_b32 s1, 0x3e5ade15
	v_fmac_f64_e32 v[18:19], s[0:1], v[14:15]
	v_mov_b32_e32 v34, 0x623fde64
	v_mov_b32_e32 v35, 0x3ec71dee
	v_fmac_f64_e32 v[34:35], v[14:15], v[18:19]
	v_mov_b32_e32 v18, 0x7c89e6b0
	v_mov_b32_e32 v19, 0x3efa0199
	v_fmac_f64_e32 v[18:19], v[14:15], v[34:35]
	v_mov_b32_e32 v34, 0x14761f6e
	v_mov_b32_e32 v35, 0x3f2a01a0
	v_fmac_f64_e32 v[34:35], v[14:15], v[18:19]
	v_mov_b32_e32 v18, 0x1852b7b0
	v_mov_b32_e32 v19, 0x3f56c16c
	v_fmac_f64_e32 v[18:19], v[14:15], v[34:35]
	v_mov_b32_e32 v34, 0x11122322
	v_mov_b32_e32 v35, 0x3f811111
	v_fmac_f64_e32 v[34:35], v[14:15], v[18:19]
	v_mov_b32_e32 v18, 0x555502a1
	v_mov_b32_e32 v19, 0x3fa55555
	v_fmac_f64_e32 v[18:19], v[14:15], v[34:35]
	v_mov_b32_e32 v34, 0x55555511
	v_mov_b32_e32 v35, 0x3fc55555
	v_fmac_f64_e32 v[34:35], v[14:15], v[18:19]
	v_mov_b32_e32 v18, 11
	v_mov_b32_e32 v19, 0x3fe00000
	v_fmac_f64_e32 v[18:19], v[14:15], v[34:35]
	s_mov_b32 s0, 0
	v_fma_f64 v[18:19], v[14:15], v[18:19], 1.0
	s_mov_b32 s1, 0x40900000
	v_fma_f64 v[14:15], v[14:15], v[18:19], 1.0
	v_cvt_i32_f64_e32 v10, v[10:11]
	v_cmp_nlt_f64_e32 vcc, s[0:1], v[8:9]
	s_mov_b32 s0, 0
	v_ldexp_f64 v[10:11], v[14:15], v10
	s_mov_b32 s1, 0xc090cc00
	v_add_f64 v[10:11], v[10:11], -1.0
	v_mov_b32_e32 v14, 0x7ff00000
	v_cmp_ngt_f64_e64 s[0:1], s[0:1], v[8:9]
	v_cndmask_b32_e32 v11, v14, v11, vcc
	v_mov_b32_e32 v14, 0xbff00000
	s_and_b64 vcc, s[0:1], vcc
	v_cndmask_b32_e64 v9, v14, v11, s[0:1]
	v_cndmask_b32_e32 v8, 0, v10, vcc
	v_mul_f64 v[2:3], v[2:3], v[8:9]
	v_div_scale_f64 v[8:9], s[0:1], v[6:7], v[6:7], v[2:3]
	v_rcp_f64_e32 v[10:11], v[8:9]
	s_nop 0
	v_fma_f64 v[14:15], -v[8:9], v[10:11], 1.0
	v_fmac_f64_e32 v[10:11], v[10:11], v[14:15]
	v_fma_f64 v[14:15], -v[8:9], v[10:11], 1.0
	v_fmac_f64_e32 v[10:11], v[10:11], v[14:15]
	v_div_scale_f64 v[14:15], vcc, v[2:3], v[6:7], v[2:3]
	v_mul_f64 v[18:19], v[14:15], v[10:11]
	v_fma_f64 v[8:9], -v[8:9], v[18:19], v[14:15]
	s_nop 1
	v_div_fmas_f64 v[8:9], v[8:9], v[10:11], v[18:19]
	v_div_fixup_f64 v[8:9], v[8:9], v[6:7], v[2:3]
.LBB0_17:
	s_or_b64 exec, exec, s[2:3]
	scratch_load_dwordx2 v[2:3], off, off offset:80 ; 8-byte Folded Reload
	s_mov_b32 s0, 0
	s_mov_b32 s1, 0xc0440000
	v_cmp_ngt_f64_e32 vcc, s[0:1], v[4:5]
	v_cmp_gt_f64_e64 s[0:1], s[0:1], v[4:5]
	v_mov_b64_e32 v[10:11], 0
	s_waitcnt vmcnt(0)
	v_add_f64 v[2:3], v[2:3], v[8:9]
	global_store_dwordx2 v[102:103], v[2:3], off
	s_and_saveexec_b64 s[6:7], s[0:1]
	s_cbranch_execz .LBB0_19
; %bb.18:
	s_mov_b32 s2, 0xd2d2d2db
	s_mov_b32 s3, 0xbfc2d2d2
	v_mul_f64 v[2:3], v[4:5], s[2:3]
	s_mov_b32 s2, 0x652b82fe
	s_mov_b32 s3, 0x3ff71547
	v_mul_f64 v[6:7], v[2:3], s[2:3]
	s_mov_b32 s2, 0xfefa39ef
	v_rndne_f64_e32 v[6:7], v[6:7]
	s_mov_b32 s3, 0xbfe62e42
	v_fma_f64 v[8:9], s[2:3], v[6:7], v[2:3]
	s_mov_b32 s2, 0x3b39803f
	s_mov_b32 s3, 0xbc7abc9e
	v_fmac_f64_e32 v[8:9], s[2:3], v[6:7]
	s_mov_b32 s2, 0x6a5dcb37
	v_mov_b32_e32 v10, 0xfca7ab0c
	v_mov_b32_e32 v11, 0x3e928af3
	s_mov_b32 s3, 0x3e5ade15
	v_fmac_f64_e32 v[10:11], s[2:3], v[8:9]
	v_mov_b32_e32 v14, 0x623fde64
	v_mov_b32_e32 v15, 0x3ec71dee
	v_fmac_f64_e32 v[14:15], v[8:9], v[10:11]
	v_mov_b32_e32 v10, 0x7c89e6b0
	v_mov_b32_e32 v11, 0x3efa0199
	;; [unrolled: 3-line block ×8, first 2 shown]
	v_fmac_f64_e32 v[10:11], v[8:9], v[14:15]
	v_fma_f64 v[10:11], v[8:9], v[10:11], 1.0
	v_fma_f64 v[8:9], v[8:9], v[10:11], 1.0
	v_cvt_i32_f64_e32 v6, v[6:7]
	s_mov_b32 s2, 0x3ee93363
	v_ldexp_f64 v[6:7], v[8:9], v6
	s_mov_b32 s3, 0x3e9dbcdc
	v_mul_f64 v[6:7], v[6:7], s[2:3]
	s_mov_b32 s2, 0
	s_mov_b32 s4, 0
	;; [unrolled: 1-line block ×4, first 2 shown]
	v_mov_b32_e32 v8, 0x7ff00000
	v_cmp_nlt_f64_e64 s[2:3], s[2:3], v[2:3]
	v_cmp_ngt_f64_e64 s[4:5], s[4:5], v[2:3]
	s_nop 0
	v_cndmask_b32_e64 v7, v8, v7, s[2:3]
	s_and_b64 s[2:3], s[4:5], s[2:3]
	v_cndmask_b32_e64 v11, 0, v7, s[4:5]
	v_cndmask_b32_e64 v10, 0, v6, s[2:3]
.LBB0_19:
	s_or_b64 exec, exec, s[6:7]
                                        ; implicit-def: $vgpr6_vgpr7
	s_and_saveexec_b64 s[2:3], vcc
	s_xor_b64 s[2:3], exec, s[2:3]
	s_cbranch_execz .LBB0_21
; %bb.20:
	s_mov_b32 s4, 0xe6a17103
	s_mov_b32 s5, 0xbfb71024
	v_mul_f64 v[2:3], v[4:5], s[4:5]
	s_mov_b32 s4, 0x652b82fe
	s_mov_b32 s5, 0x3ff71547
	v_mul_f64 v[6:7], v[2:3], s[4:5]
	s_mov_b32 s4, 0xfefa39ef
	v_rndne_f64_e32 v[6:7], v[6:7]
	s_mov_b32 s5, 0xbfe62e42
	v_fma_f64 v[8:9], s[4:5], v[6:7], v[2:3]
	s_mov_b32 s4, 0x3b39803f
	s_mov_b32 s5, 0xbc7abc9e
	v_fmac_f64_e32 v[8:9], s[4:5], v[6:7]
	s_mov_b32 s4, 0x6a5dcb37
	v_mov_b32_e32 v14, 0xfca7ab0c
	v_mov_b32_e32 v15, 0x3e928af3
	s_mov_b32 s5, 0x3e5ade15
	v_fmac_f64_e32 v[14:15], s[4:5], v[8:9]
	v_mov_b32_e32 v18, 0x623fde64
	v_mov_b32_e32 v19, 0x3ec71dee
	v_fmac_f64_e32 v[18:19], v[8:9], v[14:15]
	v_mov_b32_e32 v14, 0x7c89e6b0
	v_mov_b32_e32 v15, 0x3efa0199
	;; [unrolled: 3-line block ×8, first 2 shown]
	v_fmac_f64_e32 v[14:15], v[8:9], v[18:19]
	v_fma_f64 v[14:15], v[8:9], v[14:15], 1.0
	v_fma_f64 v[8:9], v[8:9], v[14:15], 1.0
	v_cvt_i32_f64_e32 v6, v[6:7]
	s_mov_b32 s6, 0x29549e5d
	v_ldexp_f64 v[6:7], v[8:9], v6
	s_mov_b32 s4, 0xa3d70a4
	v_mov_b32_e32 v8, 0xa3d70a4
	v_mov_b32_e32 v9, 0x3fc0a3d7
	s_mov_b32 s7, 0x3fa979e6
	s_mov_b32 s5, 0x3fe8a3d7
	v_fmac_f64_e32 v[8:9], s[6:7], v[6:7]
	v_div_scale_f64 v[6:7], s[6:7], v[8:9], v[8:9], s[4:5]
	v_rcp_f64_e32 v[14:15], v[6:7]
	s_nop 0
	v_fma_f64 v[18:19], -v[6:7], v[14:15], 1.0
	v_fmac_f64_e32 v[14:15], v[14:15], v[18:19]
	v_fma_f64 v[18:19], -v[6:7], v[14:15], 1.0
	v_fmac_f64_e32 v[14:15], v[14:15], v[18:19]
	v_div_scale_f64 v[18:19], vcc, s[4:5], v[8:9], s[4:5]
	v_mul_f64 v[34:35], v[18:19], v[14:15]
	v_fma_f64 v[6:7], -v[6:7], v[34:35], v[18:19]
	s_nop 1
	v_div_fmas_f64 v[6:7], v[6:7], v[14:15], v[34:35]
	v_div_fixup_f64 v[6:7], v[6:7], v[8:9], s[4:5]
	s_mov_b32 s4, 0
	s_mov_b32 s5, 0x40900000
	v_cmp_nlt_f64_e32 vcc, s[4:5], v[2:3]
	s_mov_b32 s4, 0
	s_mov_b32 s5, 0xc090cc00
	v_cndmask_b32_e32 v6, 0, v6, vcc
	v_cndmask_b32_e32 v7, 0, v7, vcc
	v_mov_b32_e32 v8, 0x4017b13b
	v_cmp_ngt_f64_e32 vcc, s[4:5], v[2:3]
	v_mov_b32_e32 v2, 0x13b13b14
	s_nop 0
	v_cndmask_b32_e32 v7, v8, v7, vcc
	v_cndmask_b32_e32 v6, v2, v6, vcc
	s_andn2_saveexec_b64 s[4:5], s[2:3]
	s_cbranch_execnz .LBB0_22
	s_branch .LBB0_23
.LBB0_21:
	s_andn2_saveexec_b64 s[4:5], s[2:3]
	s_cbranch_execz .LBB0_23
.LBB0_22:
	s_mov_b32 s2, 0xf1a9fbe7
	s_mov_b32 s3, 0x3fd64dd2
	;; [unrolled: 1-line block ×3, first 2 shown]
	v_mul_f64 v[2:3], v[4:5], s[2:3]
	s_mov_b32 s7, 0x3ff71547
	v_mul_f64 v[6:7], v[2:3], s[6:7]
	s_mov_b32 s8, 0xfefa39ef
	v_rndne_f64_e32 v[6:7], v[6:7]
	s_mov_b32 s9, 0xbfe62e42
	s_mov_b32 s14, 0x3b39803f
	;; [unrolled: 1-line block ×3, first 2 shown]
	v_fma_f64 v[8:9], s[8:9], v[6:7], v[2:3]
	s_mov_b32 s15, 0xbc7abc9e
	s_mov_b32 s3, 0x3e928af3
	;; [unrolled: 1-line block ×3, first 2 shown]
	v_fmac_f64_e32 v[8:9], s[14:15], v[6:7]
	s_mov_b32 s17, 0x3e5ade15
	v_mov_b64_e32 v[14:15], s[2:3]
	s_mov_b32 s18, 0x623fde64
	v_fma_f64 v[18:19], s[16:17], v[8:9], v[14:15]
	s_mov_b32 s19, 0x3ec71dee
	s_mov_b32 s20, 0x7c89e6b0
	v_fma_f64 v[18:19], v[8:9], v[18:19], s[18:19]
	s_mov_b32 s21, 0x3efa0199
	;; [unrolled: 3-line block ×6, first 2 shown]
	v_fma_f64 v[18:19], v[8:9], v[18:19], s[28:29]
	v_fma_f64 v[18:19], v[8:9], v[18:19], s[30:31]
	;; [unrolled: 1-line block ×3, first 2 shown]
	v_fma_f64 v[18:19], v[8:9], v[18:19], 1.0
	v_fma_f64 v[8:9], v[8:9], v[18:19], 1.0
	v_cvt_i32_f64_e32 v6, v[6:7]
	s_mov_b32 s2, 0
	s_mov_b32 s36, 0
	v_ldexp_f64 v[6:7], v[8:9], v6
	s_mov_b32 s3, 0x4112ebc0
	s_mov_b32 s37, 0x40900000
	;; [unrolled: 1-line block ×3, first 2 shown]
	v_mul_f64 v[6:7], v[6:7], s[2:3]
	v_mov_b32_e32 v20, 0x7ff00000
	v_cmp_nlt_f64_e32 vcc, s[36:37], v[2:3]
	s_mov_b32 s39, 0xc090cc00
	v_cmp_ngt_f64_e64 s[2:3], s[38:39], v[2:3]
	v_cndmask_b32_e32 v7, v20, v7, vcc
	s_and_b64 vcc, s[2:3], vcc
	v_cndmask_b32_e64 v3, 0, v7, s[2:3]
	s_mov_b32 s2, 0x10624dd3
	s_mov_b32 s3, 0x3fb43958
	v_cndmask_b32_e32 v2, 0, v6, vcc
	v_mul_f64 v[6:7], v[4:5], s[2:3]
	v_mul_f64 v[8:9], v[6:7], s[6:7]
	v_rndne_f64_e32 v[8:9], v[8:9]
	v_fma_f64 v[18:19], s[8:9], v[8:9], v[6:7]
	v_fmac_f64_e32 v[18:19], s[14:15], v[8:9]
	v_fmac_f64_e32 v[14:15], s[16:17], v[18:19]
	v_fma_f64 v[14:15], v[18:19], v[14:15], s[18:19]
	v_fma_f64 v[14:15], v[18:19], v[14:15], s[20:21]
	;; [unrolled: 1-line block ×8, first 2 shown]
	v_fma_f64 v[14:15], v[18:19], v[14:15], 1.0
	v_fma_f64 v[14:15], v[18:19], v[14:15], 1.0
	v_cvt_i32_f64_e32 v8, v[8:9]
	s_mov_b32 s2, 0x9999999a
	v_ldexp_f64 v[8:9], v[14:15], v8
	s_mov_b32 s3, 0x40059999
	v_mul_f64 v[8:9], v[8:9], s[2:3]
	v_cmp_nlt_f64_e32 vcc, s[36:37], v[6:7]
	v_cmp_ngt_f64_e64 s[2:3], s[38:39], v[6:7]
	s_nop 0
	v_cndmask_b32_e32 v9, v20, v9, vcc
	s_and_b64 vcc, s[2:3], vcc
	v_cndmask_b32_e64 v7, 0, v9, s[2:3]
	v_cndmask_b32_e32 v6, 0, v8, vcc
	v_add_f64 v[6:7], v[2:3], v[6:7]
.LBB0_23:
	s_or_b64 exec, exec, s[4:5]
	s_mov_b32 s2, 0x92c72650
	s_mov_b32 s3, 0x3fc13a3a
	v_mul_f64 v[2:3], v[4:5], s[2:3]
	s_mov_b32 s2, 0x652b82fe
	s_mov_b32 s3, 0x3ff71547
	v_mul_f64 v[8:9], v[2:3], s[2:3]
	s_mov_b32 s2, 0xfefa39ef
	v_rndne_f64_e32 v[8:9], v[8:9]
	s_mov_b32 s3, 0xbfe62e42
	v_fma_f64 v[14:15], s[2:3], v[8:9], v[2:3]
	s_mov_b32 s2, 0x3b39803f
	s_mov_b32 s3, 0xbc7abc9e
	v_fmac_f64_e32 v[14:15], s[2:3], v[8:9]
	s_mov_b32 s2, 0x6a5dcb37
	v_mov_b32_e32 v18, 0xfca7ab0c
	v_mov_b32_e32 v19, 0x3e928af3
	s_mov_b32 s3, 0x3e5ade15
	v_fmac_f64_e32 v[18:19], s[2:3], v[14:15]
	v_mov_b32_e32 v34, 0x623fde64
	v_mov_b32_e32 v35, 0x3ec71dee
	v_fmac_f64_e32 v[34:35], v[14:15], v[18:19]
	v_mov_b32_e32 v18, 0x7c89e6b0
	v_mov_b32_e32 v19, 0x3efa0199
	;; [unrolled: 3-line block ×8, first 2 shown]
	v_fmac_f64_e32 v[18:19], v[14:15], v[34:35]
	v_fma_f64 v[18:19], v[14:15], v[18:19], 1.0
	v_fma_f64 v[14:15], v[14:15], v[18:19], 1.0
	v_cvt_i32_f64_e32 v8, v[8:9]
	s_mov_b32 s2, 0xf0c8c96b
	v_ldexp_f64 v[8:9], v[14:15], v8
	s_mov_b32 s3, 0x40cdb64b
	v_fma_f64 v[8:9], v[8:9], s[2:3], 1.0
	s_mov_b32 s2, 0
	s_mov_b32 s3, 0x40900000
	v_cmp_nlt_f64_e32 vcc, s[2:3], v[2:3]
	s_mov_b32 s2, 0
	s_mov_b32 s3, 0xc090cc00
	v_mov_b32_e32 v14, 0x7ff00000
	v_cmp_ngt_f64_e64 s[2:3], s[2:3], v[2:3]
	v_cndmask_b32_e32 v9, v14, v9, vcc
	s_and_b64 vcc, s[2:3], vcc
	v_mov_b32_e32 v3, 0x3ff00000
	v_cndmask_b32_e32 v2, 0, v8, vcc
	v_cndmask_b32_e64 v3, v3, v9, s[2:3]
	v_mul_f64 v[2:3], v[2:3], v[2:3]
	v_div_scale_f64 v[8:9], s[2:3], v[2:3], v[2:3], 1.0
	v_rcp_f64_e32 v[14:15], v[8:9]
	v_add_f64 v[6:7], v[10:11], v[6:7]
	v_fma_f64 v[18:19], -v[8:9], v[14:15], 1.0
	v_fmac_f64_e32 v[14:15], v[14:15], v[18:19]
	v_fma_f64 v[18:19], -v[8:9], v[14:15], 1.0
	v_fmac_f64_e32 v[14:15], v[14:15], v[18:19]
	v_div_scale_f64 v[18:19], vcc, 1.0, v[2:3], 1.0
	v_mul_f64 v[34:35], v[18:19], v[14:15]
	v_fma_f64 v[8:9], -v[8:9], v[34:35], v[18:19]
	s_nop 1
	v_div_fmas_f64 v[8:9], v[8:9], v[14:15], v[34:35]
	v_div_fixup_f64 v[2:3], v[8:9], v[2:3], 1.0
	v_div_scale_f64 v[8:9], s[2:3], v[6:7], v[6:7], 1.0
	v_rcp_f64_e32 v[10:11], v[8:9]
	s_nop 0
	v_fma_f64 v[14:15], -v[8:9], v[10:11], 1.0
	v_fmac_f64_e32 v[10:11], v[10:11], v[14:15]
	v_fma_f64 v[14:15], -v[8:9], v[10:11], 1.0
	v_fmac_f64_e32 v[10:11], v[10:11], v[14:15]
	v_div_scale_f64 v[14:15], vcc, 1.0, v[6:7], 1.0
	v_mul_f64 v[18:19], v[14:15], v[10:11]
	v_fma_f64 v[8:9], -v[8:9], v[18:19], v[14:15]
	s_nop 1
	v_div_fmas_f64 v[8:9], v[8:9], v[10:11], v[18:19]
	v_div_fixup_f64 v[8:9], v[8:9], v[6:7], 1.0
	v_add_f64 v[6:7], v[2:3], -v[98:99]
	v_div_scale_f64 v[10:11], s[2:3], v[8:9], v[8:9], v[6:7]
	v_rcp_f64_e32 v[14:15], v[10:11]
	s_nop 0
	v_fma_f64 v[18:19], -v[10:11], v[14:15], 1.0
	v_fmac_f64_e32 v[14:15], v[14:15], v[18:19]
	v_fma_f64 v[18:19], -v[10:11], v[14:15], 1.0
	v_fmac_f64_e32 v[14:15], v[14:15], v[18:19]
	v_div_scale_f64 v[18:19], vcc, v[6:7], v[8:9], v[6:7]
	v_mul_f64 v[34:35], v[18:19], v[14:15]
	v_fma_f64 v[10:11], -v[10:11], v[34:35], v[18:19]
	s_nop 1
	v_div_fmas_f64 v[10:11], v[10:11], v[14:15], v[34:35]
	v_div_fixup_f64 v[6:7], v[10:11], v[8:9], v[6:7]
	v_div_scale_f64 v[10:11], s[2:3], v[8:9], v[8:9], -1.0
	v_rcp_f64_e32 v[14:15], v[10:11]
	s_mov_b32 s2, 0xe2308c3a
	s_mov_b32 s3, 0x3e45798e
	v_fma_f64 v[18:19], -v[10:11], v[14:15], 1.0
	v_fmac_f64_e32 v[14:15], v[14:15], v[18:19]
	v_fma_f64 v[18:19], -v[10:11], v[14:15], 1.0
	v_fmac_f64_e32 v[14:15], v[14:15], v[18:19]
	v_div_scale_f64 v[18:19], vcc, -1.0, v[8:9], -1.0
	v_mul_f64 v[34:35], v[18:19], v[14:15]
	v_fma_f64 v[10:11], -v[10:11], v[34:35], v[18:19]
	s_nop 1
	v_div_fmas_f64 v[10:11], v[10:11], v[14:15], v[34:35]
	v_div_fixup_f64 v[8:9], v[10:11], v[8:9], -1.0
	v_cmp_ngt_f64_e64 s[2:3], |v[8:9]|, s[2:3]
                                        ; implicit-def: $vgpr10_vgpr11
	s_and_saveexec_b64 s[4:5], s[2:3]
	s_xor_b64 s[2:3], exec, s[4:5]
; %bb.24:
	v_mul_f64 v[10:11], s[12:13], v[6:7]
                                        ; implicit-def: $vgpr8_vgpr9
                                        ; implicit-def: $vgpr6_vgpr7
; %bb.25:
	s_andn2_saveexec_b64 s[4:5], s[2:3]
	s_cbranch_execz .LBB0_27
; %bb.26:
	s_mov_b32 s2, 0x652b82fe
	v_mul_f64 v[10:11], s[12:13], v[8:9]
	s_mov_b32 s3, 0x3ff71547
	v_mul_f64 v[14:15], v[10:11], s[2:3]
	s_mov_b32 s2, 0xfefa39ef
	v_rndne_f64_e32 v[14:15], v[14:15]
	s_mov_b32 s3, 0xbfe62e42
	v_fma_f64 v[18:19], s[2:3], v[14:15], v[10:11]
	s_mov_b32 s2, 0x3b39803f
	s_mov_b32 s3, 0xbc7abc9e
	v_fmac_f64_e32 v[18:19], s[2:3], v[14:15]
	s_mov_b32 s2, 0x6a5dcb37
	v_mov_b32_e32 v34, 0xfca7ab0c
	v_mov_b32_e32 v35, 0x3e928af3
	s_mov_b32 s3, 0x3e5ade15
	v_fmac_f64_e32 v[34:35], s[2:3], v[18:19]
	v_mov_b32_e32 v36, 0x623fde64
	v_mov_b32_e32 v37, 0x3ec71dee
	v_fmac_f64_e32 v[36:37], v[18:19], v[34:35]
	v_mov_b32_e32 v34, 0x7c89e6b0
	v_mov_b32_e32 v35, 0x3efa0199
	;; [unrolled: 3-line block ×8, first 2 shown]
	v_fmac_f64_e32 v[34:35], v[18:19], v[36:37]
	s_mov_b32 s2, 0
	v_fma_f64 v[34:35], v[18:19], v[34:35], 1.0
	s_mov_b32 s3, 0x40900000
	v_fma_f64 v[18:19], v[18:19], v[34:35], 1.0
	v_cvt_i32_f64_e32 v14, v[14:15]
	v_cmp_nlt_f64_e32 vcc, s[2:3], v[10:11]
	s_mov_b32 s2, 0
	v_ldexp_f64 v[14:15], v[18:19], v14
	s_mov_b32 s3, 0xc090cc00
	v_add_f64 v[14:15], v[14:15], -1.0
	v_mov_b32_e32 v18, 0x7ff00000
	v_cmp_ngt_f64_e64 s[2:3], s[2:3], v[10:11]
	v_cndmask_b32_e32 v15, v18, v15, vcc
	v_mov_b32_e32 v18, 0xbff00000
	s_and_b64 vcc, s[2:3], vcc
	v_cndmask_b32_e64 v11, v18, v15, s[2:3]
	v_cndmask_b32_e32 v10, 0, v14, vcc
	v_mul_f64 v[6:7], v[6:7], v[10:11]
	v_div_scale_f64 v[10:11], s[2:3], v[8:9], v[8:9], v[6:7]
	v_rcp_f64_e32 v[14:15], v[10:11]
	s_nop 0
	v_fma_f64 v[18:19], -v[10:11], v[14:15], 1.0
	v_fmac_f64_e32 v[14:15], v[14:15], v[18:19]
	v_fma_f64 v[18:19], -v[10:11], v[14:15], 1.0
	v_fmac_f64_e32 v[14:15], v[14:15], v[18:19]
	v_div_scale_f64 v[18:19], vcc, v[6:7], v[8:9], v[6:7]
	v_mul_f64 v[34:35], v[18:19], v[14:15]
	v_fma_f64 v[10:11], -v[10:11], v[34:35], v[18:19]
	s_nop 1
	v_div_fmas_f64 v[10:11], v[10:11], v[14:15], v[34:35]
	v_div_fixup_f64 v[10:11], v[10:11], v[8:9], v[6:7]
.LBB0_27:
	s_or_b64 exec, exec, s[4:5]
	v_add_f64 v[6:7], v[98:99], v[10:11]
	global_store_dwordx2 v[24:25], v[6:7], off
	v_mov_b64_e32 v[6:7], 0
	v_mov_b32_e32 v18, 0x9fbe76c9
	v_mov_b32_e32 v19, 0x3fad2f1a
	;; [unrolled: 1-line block ×8, first 2 shown]
	s_and_saveexec_b64 s[2:3], s[0:1]
	s_cbranch_execz .LBB0_29
; %bb.28:
	s_mov_b32 s0, 0xa3d70a4
	s_mov_b32 s1, 0x4042e3d7
	v_add_f64 v[6:7], v[4:5], s[0:1]
	s_mov_b32 s0, 0xcb923a2a
	s_mov_b32 s1, 0x3fcf487f
	;; [unrolled: 1-line block ×3, first 2 shown]
	v_mul_f64 v[10:11], v[4:5], s[0:1]
	s_mov_b32 s5, 0x3ff71547
	v_mul_f64 v[8:9], v[10:11], s[4:5]
	s_mov_b32 s6, 0xfefa39ef
	v_rndne_f64_e32 v[14:15], v[8:9]
	s_mov_b32 s7, 0xbfe62e42
	s_mov_b32 s8, 0x3b39803f
	;; [unrolled: 1-line block ×3, first 2 shown]
	v_fma_f64 v[18:19], s[6:7], v[14:15], v[10:11]
	s_mov_b32 s9, 0xbc7abc9e
	s_mov_b32 s1, 0x3e928af3
	;; [unrolled: 1-line block ×3, first 2 shown]
	v_fmac_f64_e32 v[18:19], s[8:9], v[14:15]
	s_mov_b32 s15, 0x3e5ade15
	v_mov_b64_e32 v[8:9], s[0:1]
	s_mov_b32 s16, 0x623fde64
	v_fma_f64 v[24:25], s[14:15], v[18:19], v[8:9]
	s_mov_b32 s17, 0x3ec71dee
	s_mov_b32 s18, 0x7c89e6b0
	v_fma_f64 v[24:25], v[18:19], v[24:25], s[16:17]
	s_mov_b32 s19, 0x3efa0199
	;; [unrolled: 3-line block ×8, first 2 shown]
	v_fma_f64 v[24:25], v[18:19], v[24:25], s[30:31]
	v_fma_f64 v[24:25], v[18:19], v[24:25], 1.0
	v_fma_f64 v[18:19], v[18:19], v[24:25], 1.0
	v_cvt_i32_f64_e32 v14, v[14:15]
	s_mov_b32 s0, 0
	s_mov_b32 s34, 0
	v_ldexp_f64 v[14:15], v[18:19], v14
	s_mov_b32 s1, 0xc0d8d500
	s_mov_b32 s35, 0x40900000
	;; [unrolled: 1-line block ×3, first 2 shown]
	v_mul_f64 v[14:15], v[14:15], s[0:1]
	v_mov_b32_e32 v18, 0xfff00000
	v_cmp_nlt_f64_e32 vcc, s[34:35], v[10:11]
	s_mov_b32 s37, 0xc090cc00
	v_cmp_ngt_f64_e64 s[0:1], s[36:37], v[10:11]
	v_cndmask_b32_e32 v15, v18, v15, vcc
	v_bfrev_b32_e32 v18, 1
	v_cndmask_b32_e64 v11, v18, v15, s[0:1]
	s_and_b64 vcc, s[0:1], vcc
	s_mov_b32 s0, 0x1bef49cf
	s_mov_b32 s1, 0xbfa67b5f
	v_cndmask_b32_e32 v10, 0, v14, vcc
	v_mul_f64 v[14:15], v[4:5], s[0:1]
	v_mul_f64 v[18:19], v[14:15], s[4:5]
	v_rndne_f64_e32 v[18:19], v[18:19]
	v_fma_f64 v[24:25], s[6:7], v[18:19], v[14:15]
	v_fmac_f64_e32 v[24:25], s[8:9], v[18:19]
	v_fma_f64 v[34:35], s[14:15], v[24:25], v[8:9]
	v_fma_f64 v[34:35], v[24:25], v[34:35], s[16:17]
	;; [unrolled: 1-line block ×9, first 2 shown]
	v_fma_f64 v[34:35], v[24:25], v[34:35], 1.0
	v_fma_f64 v[24:25], v[24:25], v[34:35], 1.0
	v_cvt_i32_f64_e32 v18, v[18:19]
	s_mov_b32 s0, 0xb28be17e
	v_ldexp_f64 v[18:19], v[24:25], v18
	s_mov_b32 s1, 0x3edd245b
	v_mul_f64 v[18:19], v[18:19], s[0:1]
	v_mov_b32_e32 v20, 0x7ff00000
	v_cmp_nlt_f64_e32 vcc, s[34:35], v[14:15]
	v_cmp_ngt_f64_e64 s[0:1], s[36:37], v[14:15]
	s_nop 0
	v_cndmask_b32_e32 v19, v20, v19, vcc
	s_and_b64 vcc, s[0:1], vcc
	v_cndmask_b32_e64 v15, 0, v19, s[0:1]
	v_cndmask_b32_e32 v14, 0, v18, vcc
	s_mov_b32 s0, 0x8b439581
	v_add_f64 v[10:11], v[10:11], -v[14:15]
	s_mov_b32 s1, 0x3fd3e76c
	v_mul_f64 v[6:7], v[6:7], v[10:11]
	v_mul_f64 v[10:11], v[4:5], s[0:1]
	;; [unrolled: 1-line block ×3, first 2 shown]
	v_rndne_f64_e32 v[14:15], v[14:15]
	v_fma_f64 v[18:19], s[6:7], v[14:15], v[10:11]
	v_fmac_f64_e32 v[18:19], s[8:9], v[14:15]
	v_fmac_f64_e32 v[8:9], s[14:15], v[18:19]
	v_fma_f64 v[8:9], v[18:19], v[8:9], s[16:17]
	v_fma_f64 v[8:9], v[18:19], v[8:9], s[18:19]
	;; [unrolled: 1-line block ×8, first 2 shown]
	v_fma_f64 v[8:9], v[18:19], v[8:9], 1.0
	v_fma_f64 v[8:9], v[18:19], v[8:9], 1.0
	v_cvt_i32_f64_e32 v14, v[14:15]
	s_mov_b32 s0, 0x45c3e873
	v_ldexp_f64 v[8:9], v[8:9], v14
	s_mov_b32 s1, 0x422767c9
	v_fma_f64 v[8:9], v[8:9], s[0:1], 1.0
	v_cmp_nlt_f64_e32 vcc, s[34:35], v[10:11]
	v_cmp_ngt_f64_e64 s[0:1], s[36:37], v[10:11]
	v_mov_b32_e32 v14, 0x3ff00000
	v_cndmask_b32_e32 v9, v20, v9, vcc
	s_and_b64 vcc, s[0:1], vcc
	v_cndmask_b32_e64 v9, v14, v9, s[0:1]
	v_cndmask_b32_e32 v8, 0, v8, vcc
	v_div_scale_f64 v[10:11], s[0:1], v[8:9], v[8:9], v[6:7]
	v_rcp_f64_e32 v[14:15], v[10:11]
	s_nop 0
	v_fma_f64 v[18:19], -v[10:11], v[14:15], 1.0
	v_fmac_f64_e32 v[14:15], v[14:15], v[18:19]
	v_fma_f64 v[18:19], -v[10:11], v[14:15], 1.0
	v_fmac_f64_e32 v[14:15], v[14:15], v[18:19]
	v_div_scale_f64 v[18:19], vcc, v[6:7], v[8:9], v[6:7]
	v_mul_f64 v[24:25], v[18:19], v[14:15]
	v_fma_f64 v[10:11], -v[10:11], v[24:25], v[18:19]
	v_mov_b32_e32 v18, 0x7fa1a0cf
	s_nop 0
	v_div_fmas_f64 v[10:11], v[10:11], v[14:15], v[24:25]
	v_div_fixup_f64 v[6:7], v[10:11], v[8:9], v[6:7]
	v_mov_b32_e32 v19, 0xbf858b82
	v_mov_b32_e32 v14, 0xdd052935
	;; [unrolled: 1-line block ×7, first 2 shown]
.LBB0_29:
	s_or_b64 exec, exec, s[2:3]
	s_mov_b32 s2, 0x652b82fe
	v_mul_f64 v[18:19], v[4:5], v[18:19]
	s_mov_b32 s3, 0x3ff71547
	v_mul_f64 v[24:25], v[18:19], s[2:3]
	s_mov_b32 s4, 0xfefa39ef
	v_rndne_f64_e32 v[24:25], v[24:25]
	s_mov_b32 s5, 0xbfe62e42
	s_mov_b32 s6, 0x3b39803f
	;; [unrolled: 1-line block ×3, first 2 shown]
	v_fma_f64 v[34:35], s[4:5], v[24:25], v[18:19]
	s_mov_b32 s7, 0xbc7abc9e
	s_mov_b32 s1, 0x3e928af3
	;; [unrolled: 1-line block ×3, first 2 shown]
	v_fmac_f64_e32 v[34:35], s[6:7], v[24:25]
	s_mov_b32 s9, 0x3e5ade15
	v_mov_b64_e32 v[36:37], s[0:1]
	s_mov_b32 s14, 0x623fde64
	v_fma_f64 v[44:45], s[8:9], v[34:35], v[36:37]
	s_mov_b32 s15, 0x3ec71dee
	s_mov_b32 s16, 0x7c89e6b0
	v_fma_f64 v[44:45], v[34:35], v[44:45], s[14:15]
	s_mov_b32 s17, 0x3efa0199
	;; [unrolled: 3-line block ×8, first 2 shown]
	v_fma_f64 v[44:45], v[34:35], v[44:45], s[28:29]
	s_mov_b32 s30, 0
	s_mov_b32 s34, 0
	v_fma_f64 v[44:45], v[34:35], v[44:45], 1.0
	s_mov_b32 s31, 0x40900000
	s_mov_b32 s35, 0xc090cc00
	v_mul_f64 v[10:11], v[4:5], v[10:11]
	v_fma_f64 v[34:35], v[34:35], v[44:45], 1.0
	v_cvt_i32_f64_e32 v20, v[24:25]
	v_cmp_nlt_f64_e32 vcc, s[30:31], v[18:19]
	v_cmp_ngt_f64_e64 s[0:1], s[34:35], v[18:19]
	v_mul_f64 v[18:19], v[10:11], s[2:3]
	v_ldexp_f64 v[24:25], v[34:35], v20
	v_rndne_f64_e32 v[18:19], v[18:19]
	v_mul_f64 v[14:15], v[24:25], v[14:15]
	v_fma_f64 v[24:25], s[4:5], v[18:19], v[10:11]
	v_fmac_f64_e32 v[24:25], s[6:7], v[18:19]
	v_fmac_f64_e32 v[36:37], s[8:9], v[24:25]
	v_fma_f64 v[34:35], v[24:25], v[36:37], s[14:15]
	v_fma_f64 v[34:35], v[24:25], v[34:35], s[16:17]
	;; [unrolled: 1-line block ×8, first 2 shown]
	v_fma_f64 v[34:35], v[24:25], v[34:35], 1.0
	v_mov_b32_e32 v20, 0x7ff00000
	v_fma_f64 v[24:25], v[24:25], v[34:35], 1.0
	v_cvt_i32_f64_e32 v18, v[18:19]
	v_cndmask_b32_e32 v15, v20, v15, vcc
	s_and_b64 vcc, s[0:1], vcc
	v_ldexp_f64 v[18:19], v[24:25], v18
	v_cndmask_b32_e64 v15, 0, v15, s[0:1]
	v_cndmask_b32_e32 v14, 0, v14, vcc
	v_fma_f64 v[8:9], v[18:19], v[8:9], 1.0
	v_cmp_nlt_f64_e32 vcc, s[30:31], v[10:11]
	v_cmp_ngt_f64_e64 s[0:1], s[34:35], v[10:11]
	v_mov_b32_e32 v18, 0x3ff00000
	v_cndmask_b32_e32 v9, v20, v9, vcc
	s_and_b64 vcc, s[0:1], vcc
	v_cndmask_b32_e64 v9, v18, v9, s[0:1]
	v_cndmask_b32_e32 v8, 0, v8, vcc
	v_div_scale_f64 v[10:11], s[0:1], v[8:9], v[8:9], v[14:15]
	v_rcp_f64_e32 v[18:19], v[10:11]
	s_nop 0
	v_fma_f64 v[24:25], -v[10:11], v[18:19], 1.0
	v_fmac_f64_e32 v[18:19], v[18:19], v[24:25]
	v_fma_f64 v[24:25], -v[10:11], v[18:19], 1.0
	v_fmac_f64_e32 v[18:19], v[18:19], v[24:25]
	v_div_scale_f64 v[24:25], vcc, v[14:15], v[8:9], v[14:15]
	v_mul_f64 v[34:35], v[24:25], v[18:19]
	v_fma_f64 v[10:11], -v[10:11], v[34:35], v[24:25]
	s_nop 1
	v_div_fmas_f64 v[10:11], v[10:11], v[18:19], v[34:35]
	v_div_fixup_f64 v[8:9], v[10:11], v[8:9], v[14:15]
	v_add_f64 v[6:7], v[6:7], v[8:9]
	v_div_scale_f64 v[8:9], s[0:1], v[6:7], v[6:7], 1.0
	v_rcp_f64_e32 v[10:11], v[8:9]
	s_nop 0
	v_fma_f64 v[14:15], -v[8:9], v[10:11], 1.0
	v_fmac_f64_e32 v[10:11], v[10:11], v[14:15]
	v_fma_f64 v[14:15], -v[8:9], v[10:11], 1.0
	v_fmac_f64_e32 v[10:11], v[10:11], v[14:15]
	v_div_scale_f64 v[14:15], vcc, 1.0, v[6:7], 1.0
	v_mul_f64 v[18:19], v[14:15], v[10:11]
	v_fma_f64 v[8:9], -v[8:9], v[18:19], v[14:15]
	s_nop 1
	v_div_fmas_f64 v[8:9], v[8:9], v[10:11], v[18:19]
	v_div_fixup_f64 v[8:9], v[8:9], v[6:7], 1.0
	scratch_load_dwordx2 v[6:7], off, off offset:24 ; 8-byte Folded Reload
	s_waitcnt vmcnt(0)
	v_add_f64 v[2:3], v[2:3], -v[6:7]
	v_div_scale_f64 v[6:7], s[0:1], v[8:9], v[8:9], v[2:3]
	v_rcp_f64_e32 v[10:11], v[6:7]
	s_nop 0
	v_fma_f64 v[14:15], -v[6:7], v[10:11], 1.0
	v_fmac_f64_e32 v[10:11], v[10:11], v[14:15]
	v_fma_f64 v[14:15], -v[6:7], v[10:11], 1.0
	v_fmac_f64_e32 v[10:11], v[10:11], v[14:15]
	v_div_scale_f64 v[14:15], vcc, v[2:3], v[8:9], v[2:3]
	v_mul_f64 v[18:19], v[14:15], v[10:11]
	v_fma_f64 v[6:7], -v[6:7], v[18:19], v[14:15]
	v_div_scale_f64 v[14:15], s[0:1], v[8:9], v[8:9], -1.0
	v_rcp_f64_e32 v[24:25], v[14:15]
	v_div_fmas_f64 v[6:7], v[6:7], v[10:11], v[18:19]
	v_div_fixup_f64 v[6:7], v[6:7], v[8:9], v[2:3]
	s_mov_b32 s0, 0xe2308c3a
	v_fma_f64 v[2:3], -v[14:15], v[24:25], 1.0
	v_fmac_f64_e32 v[24:25], v[24:25], v[2:3]
	v_fma_f64 v[2:3], -v[14:15], v[24:25], 1.0
	v_fmac_f64_e32 v[24:25], v[24:25], v[2:3]
	v_div_scale_f64 v[2:3], vcc, -1.0, v[8:9], -1.0
	v_mul_f64 v[10:11], v[2:3], v[24:25]
	v_fma_f64 v[2:3], -v[14:15], v[10:11], v[2:3]
	s_mov_b32 s1, 0x3e45798e
	s_nop 0
	v_div_fmas_f64 v[2:3], v[2:3], v[24:25], v[10:11]
	v_div_fixup_f64 v[2:3], v[2:3], v[8:9], -1.0
	v_cmp_ngt_f64_e64 s[0:1], |v[2:3]|, s[0:1]
                                        ; implicit-def: $vgpr8_vgpr9
	s_and_saveexec_b64 s[2:3], s[0:1]
	s_xor_b64 s[0:1], exec, s[2:3]
; %bb.30:
	v_mul_f64 v[8:9], s[12:13], v[6:7]
                                        ; implicit-def: $vgpr2_vgpr3
                                        ; implicit-def: $vgpr6_vgpr7
; %bb.31:
	s_andn2_saveexec_b64 s[2:3], s[0:1]
	s_cbranch_execz .LBB0_33
; %bb.32:
	s_mov_b32 s0, 0x652b82fe
	v_mul_f64 v[8:9], s[12:13], v[2:3]
	s_mov_b32 s1, 0x3ff71547
	v_mul_f64 v[10:11], v[8:9], s[0:1]
	s_mov_b32 s0, 0xfefa39ef
	v_rndne_f64_e32 v[10:11], v[10:11]
	s_mov_b32 s1, 0xbfe62e42
	v_fma_f64 v[14:15], s[0:1], v[10:11], v[8:9]
	s_mov_b32 s0, 0x3b39803f
	s_mov_b32 s1, 0xbc7abc9e
	v_fmac_f64_e32 v[14:15], s[0:1], v[10:11]
	s_mov_b32 s0, 0x6a5dcb37
	v_mov_b32_e32 v18, 0xfca7ab0c
	v_mov_b32_e32 v19, 0x3e928af3
	s_mov_b32 s1, 0x3e5ade15
	v_fmac_f64_e32 v[18:19], s[0:1], v[14:15]
	v_mov_b32_e32 v24, 0x623fde64
	v_mov_b32_e32 v25, 0x3ec71dee
	v_fmac_f64_e32 v[24:25], v[14:15], v[18:19]
	v_mov_b32_e32 v18, 0x7c89e6b0
	v_mov_b32_e32 v19, 0x3efa0199
	v_fmac_f64_e32 v[18:19], v[14:15], v[24:25]
	v_mov_b32_e32 v24, 0x14761f6e
	v_mov_b32_e32 v25, 0x3f2a01a0
	v_fmac_f64_e32 v[24:25], v[14:15], v[18:19]
	v_mov_b32_e32 v18, 0x1852b7b0
	v_mov_b32_e32 v19, 0x3f56c16c
	v_fmac_f64_e32 v[18:19], v[14:15], v[24:25]
	v_mov_b32_e32 v24, 0x11122322
	v_mov_b32_e32 v25, 0x3f811111
	v_fmac_f64_e32 v[24:25], v[14:15], v[18:19]
	v_mov_b32_e32 v18, 0x555502a1
	v_mov_b32_e32 v19, 0x3fa55555
	v_fmac_f64_e32 v[18:19], v[14:15], v[24:25]
	v_mov_b32_e32 v24, 0x55555511
	v_mov_b32_e32 v25, 0x3fc55555
	v_fmac_f64_e32 v[24:25], v[14:15], v[18:19]
	v_mov_b32_e32 v18, 11
	v_mov_b32_e32 v19, 0x3fe00000
	v_fmac_f64_e32 v[18:19], v[14:15], v[24:25]
	s_mov_b32 s0, 0
	v_fma_f64 v[18:19], v[14:15], v[18:19], 1.0
	s_mov_b32 s1, 0x40900000
	v_fma_f64 v[14:15], v[14:15], v[18:19], 1.0
	v_cvt_i32_f64_e32 v10, v[10:11]
	v_cmp_nlt_f64_e32 vcc, s[0:1], v[8:9]
	s_mov_b32 s0, 0
	v_ldexp_f64 v[10:11], v[14:15], v10
	s_mov_b32 s1, 0xc090cc00
	v_add_f64 v[10:11], v[10:11], -1.0
	v_mov_b32_e32 v14, 0x7ff00000
	v_cmp_ngt_f64_e64 s[0:1], s[0:1], v[8:9]
	v_cndmask_b32_e32 v11, v14, v11, vcc
	v_mov_b32_e32 v14, 0xbff00000
	s_and_b64 vcc, s[0:1], vcc
	v_cndmask_b32_e64 v9, v14, v11, s[0:1]
	v_cndmask_b32_e32 v8, 0, v10, vcc
	v_mul_f64 v[6:7], v[6:7], v[8:9]
	v_div_scale_f64 v[8:9], s[0:1], v[2:3], v[2:3], v[6:7]
	v_rcp_f64_e32 v[10:11], v[8:9]
	s_nop 0
	v_fma_f64 v[14:15], -v[8:9], v[10:11], 1.0
	v_fmac_f64_e32 v[10:11], v[10:11], v[14:15]
	v_fma_f64 v[14:15], -v[8:9], v[10:11], 1.0
	v_fmac_f64_e32 v[10:11], v[10:11], v[14:15]
	v_div_scale_f64 v[14:15], vcc, v[6:7], v[2:3], v[6:7]
	v_mul_f64 v[18:19], v[14:15], v[10:11]
	v_fma_f64 v[8:9], -v[8:9], v[18:19], v[14:15]
	s_nop 1
	v_div_fmas_f64 v[8:9], v[8:9], v[10:11], v[18:19]
	v_div_fixup_f64 v[8:9], v[8:9], v[2:3], v[6:7]
.LBB0_33:
	s_or_b64 exec, exec, s[2:3]
	scratch_load_dwordx2 v[2:3], off, off offset:24 ; 8-byte Folded Reload
	s_mov_b32 s0, 0x11111105
	s_mov_b32 s1, 0xbfc11111
	;; [unrolled: 1-line block ×3, first 2 shown]
	v_mul_f64 v[6:7], v[4:5], s[0:1]
	s_mov_b32 s3, 0x3ff71547
	s_mov_b32 s0, 0xfca7ab0c
	;; [unrolled: 1-line block ×3, first 2 shown]
	v_mov_b32_e32 v20, 0x3ff00000
	v_mov_b32_e32 v21, 0x66666666
	s_waitcnt vmcnt(0)
	v_add_f64 v[2:3], v[2:3], v[8:9]
	global_store_dwordx2 v[16:17], v[2:3], off
	v_mul_f64 v[2:3], v[6:7], s[2:3]
	v_rndne_f64_e32 v[8:9], v[2:3]
	v_fma_f64 v[10:11], s[4:5], v[8:9], v[6:7]
	v_fmac_f64_e32 v[10:11], s[6:7], v[8:9]
	v_mov_b64_e32 v[2:3], s[0:1]
	v_fma_f64 v[14:15], s[8:9], v[10:11], v[2:3]
	v_fma_f64 v[14:15], v[10:11], v[14:15], s[14:15]
	;; [unrolled: 1-line block ×9, first 2 shown]
	v_fma_f64 v[14:15], v[10:11], v[14:15], 1.0
	v_fma_f64 v[10:11], v[10:11], v[14:15], 1.0
	v_cvt_i32_f64_e32 v8, v[8:9]
	s_mov_b32 s0, 0x9ad86a7a
	v_ldexp_f64 v[8:9], v[10:11], v8
	s_mov_b32 s1, 0x3fd6069d
	v_fma_f64 v[8:9], v[8:9], s[0:1], 1.0
	v_div_scale_f64 v[10:11], s[0:1], v[8:9], v[8:9], 1.0
	v_rcp_f64_e32 v[14:15], v[10:11]
	v_cmp_ngt_f64_e64 s[0:1], s[34:35], v[6:7]
	v_fma_f64 v[16:17], -v[10:11], v[14:15], 1.0
	v_fmac_f64_e32 v[14:15], v[14:15], v[16:17]
	v_fma_f64 v[16:17], -v[10:11], v[14:15], 1.0
	v_fmac_f64_e32 v[14:15], v[14:15], v[16:17]
	v_div_scale_f64 v[16:17], vcc, 1.0, v[8:9], 1.0
	v_mul_f64 v[18:19], v[16:17], v[14:15]
	v_fma_f64 v[10:11], -v[10:11], v[18:19], v[16:17]
	s_nop 1
	v_div_fmas_f64 v[10:11], v[10:11], v[14:15], v[18:19]
	v_div_fixup_f64 v[8:9], v[10:11], v[8:9], 1.0
	v_cmp_nlt_f64_e32 vcc, s[30:31], v[6:7]
	s_nop 1
	v_cndmask_b32_e32 v9, 0, v9, vcc
	s_and_b64 vcc, s[0:1], vcc
	v_cndmask_b32_e64 v7, v20, v9, s[0:1]
	s_mov_b32 s0, 0
	s_mov_b32 s1, 0xc02a0000
	v_cndmask_b32_e32 v6, 0, v8, vcc
	v_div_scale_f64 v[8:9], s[36:37], s[0:1], s[0:1], v[4:5]
	v_rcp_f64_e32 v[10:11], v[8:9]
	s_nop 0
	v_fma_f64 v[14:15], -v[8:9], v[10:11], 1.0
	v_fmac_f64_e32 v[10:11], v[10:11], v[14:15]
	v_fma_f64 v[14:15], -v[8:9], v[10:11], 1.0
	v_fmac_f64_e32 v[10:11], v[10:11], v[14:15]
	v_div_scale_f64 v[14:15], vcc, v[4:5], s[0:1], v[4:5]
	v_mul_f64 v[16:17], v[14:15], v[10:11]
	v_fma_f64 v[8:9], -v[8:9], v[16:17], v[14:15]
	s_nop 1
	v_div_fmas_f64 v[8:9], v[8:9], v[10:11], v[16:17]
	v_div_fixup_f64 v[8:9], v[8:9], s[0:1], v[4:5]
	s_mov_b32 s0, 0x9d89d89e
	s_mov_b32 s1, 0xc00589d8
	v_add_f64 v[8:9], v[8:9], s[0:1]
	v_mul_f64 v[10:11], v[8:9], s[2:3]
	v_rndne_f64_e32 v[10:11], v[10:11]
	v_fma_f64 v[14:15], s[4:5], v[10:11], v[8:9]
	v_fmac_f64_e32 v[14:15], s[6:7], v[10:11]
	v_fma_f64 v[16:17], s[8:9], v[14:15], v[2:3]
	v_fma_f64 v[16:17], v[14:15], v[16:17], s[14:15]
	v_fma_f64 v[16:17], v[14:15], v[16:17], s[16:17]
	v_fma_f64 v[16:17], v[14:15], v[16:17], s[18:19]
	v_fma_f64 v[16:17], v[14:15], v[16:17], s[20:21]
	v_fma_f64 v[16:17], v[14:15], v[16:17], s[22:23]
	v_fma_f64 v[16:17], v[14:15], v[16:17], s[24:25]
	v_fma_f64 v[16:17], v[14:15], v[16:17], s[26:27]
	v_fma_f64 v[16:17], v[14:15], v[16:17], s[28:29]
	v_fma_f64 v[16:17], v[14:15], v[16:17], 1.0
	v_fma_f64 v[14:15], v[14:15], v[16:17], 1.0
	v_cvt_i32_f64_e32 v10, v[10:11]
	v_ldexp_f64 v[10:11], v[14:15], v10
	s_mov_b32 s0, 0x66666666
	v_add_f64 v[10:11], v[10:11], 1.0
	s_mov_b32 s1, 0x3ff66666
	v_div_scale_f64 v[14:15], s[36:37], v[10:11], v[10:11], s[0:1]
	v_rcp_f64_e32 v[16:17], v[14:15]
	s_mov_b32 s36, 0
	s_mov_b32 s37, 0x3fd00000
	v_fma_f64 v[18:19], -v[14:15], v[16:17], 1.0
	v_fmac_f64_e32 v[16:17], v[16:17], v[18:19]
	v_fma_f64 v[18:19], -v[14:15], v[16:17], 1.0
	v_fmac_f64_e32 v[16:17], v[16:17], v[18:19]
	v_div_scale_f64 v[18:19], vcc, s[0:1], v[10:11], s[0:1]
	v_mul_f64 v[24:25], v[18:19], v[16:17]
	v_fma_f64 v[14:15], -v[14:15], v[24:25], v[18:19]
	s_nop 1
	v_div_fmas_f64 v[14:15], v[14:15], v[16:17], v[24:25]
	v_div_fixup_f64 v[10:11], v[14:15], v[10:11], s[0:1]
	v_add_f64 v[10:11], v[10:11], s[36:37]
	v_cmp_nlt_f64_e32 vcc, s[30:31], v[8:9]
	v_mov_b32_e32 v14, 0x3fd00000
	s_nop 0
	v_cndmask_b32_e32 v10, 0, v10, vcc
	v_cndmask_b32_e32 v11, v14, v11, vcc
	v_cmp_ngt_f64_e32 vcc, s[34:35], v[8:9]
	v_mov_b32_e32 v8, 0x3ffa6666
	s_nop 0
	v_cndmask_b32_e32 v9, v8, v11, vcc
	v_cndmask_b32_e32 v8, v21, v10, vcc
	v_add_f64 v[10:11], v[22:23], 1.0
	v_mul_f64 v[14:15], v[10:11], s[2:3]
	v_rndne_f64_e32 v[14:15], v[14:15]
	v_fma_f64 v[16:17], s[4:5], v[14:15], v[10:11]
	v_fmac_f64_e32 v[16:17], s[6:7], v[14:15]
	v_fma_f64 v[18:19], s[8:9], v[16:17], v[2:3]
	v_fma_f64 v[18:19], v[16:17], v[18:19], s[14:15]
	;; [unrolled: 1-line block ×9, first 2 shown]
	v_fma_f64 v[18:19], v[16:17], v[18:19], 1.0
	v_fma_f64 v[16:17], v[16:17], v[18:19], 1.0
	v_cvt_i32_f64_e32 v14, v[14:15]
	v_ldexp_f64 v[14:15], v[16:17], v14
	v_add_f64 v[14:15], v[14:15], 1.0
	v_div_scale_f64 v[16:17], s[36:37], v[14:15], v[14:15], s[0:1]
	v_rcp_f64_e32 v[18:19], v[16:17]
	s_nop 0
	v_fma_f64 v[24:25], -v[16:17], v[18:19], 1.0
	v_fmac_f64_e32 v[18:19], v[18:19], v[24:25]
	v_fma_f64 v[24:25], -v[16:17], v[18:19], 1.0
	v_fmac_f64_e32 v[18:19], v[18:19], v[24:25]
	v_div_scale_f64 v[24:25], vcc, s[0:1], v[14:15], s[0:1]
	v_mul_f64 v[34:35], v[24:25], v[18:19]
	v_fma_f64 v[16:17], -v[16:17], v[34:35], v[24:25]
	s_nop 1
	v_div_fmas_f64 v[16:17], v[16:17], v[18:19], v[34:35]
	v_div_fixup_f64 v[14:15], v[16:17], v[14:15], s[0:1]
	v_cmp_nlt_f64_e32 vcc, s[30:31], v[10:11]
	s_mov_b32 s0, 0
	s_mov_b32 s1, 0x40040000
	v_cndmask_b32_e32 v14, 0, v14, vcc
	v_cndmask_b32_e32 v15, 0, v15, vcc
	v_cmp_ngt_f64_e32 vcc, s[34:35], v[10:11]
	v_mov_b32_e32 v10, 0x3ff66666
	s_nop 0
	v_cndmask_b32_e32 v11, v10, v15, vcc
	v_cndmask_b32_e32 v10, v21, v14, vcc
	v_add_f64 v[14:15], -v[26:27], s[0:1]
	v_mul_f64 v[16:17], v[14:15], s[2:3]
	v_rndne_f64_e32 v[16:17], v[16:17]
	v_fma_f64 v[18:19], s[4:5], v[16:17], v[14:15]
	v_fmac_f64_e32 v[18:19], s[6:7], v[16:17]
	v_fmac_f64_e32 v[2:3], s[8:9], v[18:19]
	v_fma_f64 v[2:3], v[18:19], v[2:3], s[14:15]
	v_fma_f64 v[2:3], v[18:19], v[2:3], s[16:17]
	;; [unrolled: 1-line block ×8, first 2 shown]
	v_fma_f64 v[2:3], v[18:19], v[2:3], 1.0
	v_fma_f64 v[2:3], v[18:19], v[2:3], 1.0
	v_cvt_i32_f64_e32 v16, v[16:17]
	v_ldexp_f64 v[2:3], v[2:3], v16
	v_add_f64 v[2:3], v[2:3], 1.0
	v_div_scale_f64 v[16:17], s[0:1], v[2:3], v[2:3], 1.0
	v_rcp_f64_e32 v[18:19], v[16:17]
	v_cmp_ngt_f64_e64 s[0:1], s[34:35], v[14:15]
	v_fma_f64 v[24:25], -v[16:17], v[18:19], 1.0
	v_fmac_f64_e32 v[18:19], v[18:19], v[24:25]
	v_fma_f64 v[24:25], -v[16:17], v[18:19], 1.0
	v_fmac_f64_e32 v[18:19], v[18:19], v[24:25]
	v_div_scale_f64 v[24:25], vcc, 1.0, v[2:3], 1.0
	v_mul_f64 v[26:27], v[24:25], v[18:19]
	v_fma_f64 v[16:17], -v[16:17], v[26:27], v[24:25]
	s_nop 1
	v_div_fmas_f64 v[16:17], v[16:17], v[18:19], v[26:27]
	v_div_fixup_f64 v[2:3], v[16:17], v[2:3], 1.0
	v_cmp_nlt_f64_e32 vcc, s[30:31], v[14:15]
	s_nop 1
	v_cndmask_b32_e32 v3, 0, v3, vcc
	s_and_b64 vcc, s[0:1], vcc
	v_cndmask_b32_e32 v14, 0, v2, vcc
	v_cndmask_b32_e64 v15, v20, v3, s[0:1]
	v_fmac_f64_e32 v[14:15], v[10:11], v[8:9]
	v_add_f64 v[2:3], v[6:7], -v[70:71]
	v_div_scale_f64 v[6:7], s[0:1], v[14:15], v[14:15], v[2:3]
	v_rcp_f64_e32 v[8:9], v[6:7]
	s_nop 0
	v_fma_f64 v[10:11], -v[6:7], v[8:9], 1.0
	v_fmac_f64_e32 v[8:9], v[8:9], v[10:11]
	v_fma_f64 v[10:11], -v[6:7], v[8:9], 1.0
	v_fmac_f64_e32 v[8:9], v[8:9], v[10:11]
	v_div_scale_f64 v[10:11], vcc, v[2:3], v[14:15], v[2:3]
	v_mul_f64 v[16:17], v[10:11], v[8:9]
	v_fma_f64 v[6:7], -v[6:7], v[16:17], v[10:11]
	s_nop 1
	v_div_fmas_f64 v[6:7], v[6:7], v[8:9], v[16:17]
	v_div_fixup_f64 v[2:3], v[6:7], v[14:15], v[2:3]
	v_div_scale_f64 v[6:7], s[0:1], v[14:15], v[14:15], -1.0
	v_rcp_f64_e32 v[8:9], v[6:7]
	s_mov_b32 s0, 0xe2308c3a
	s_mov_b32 s1, 0x3e45798e
	v_fma_f64 v[10:11], -v[6:7], v[8:9], 1.0
	v_fmac_f64_e32 v[8:9], v[8:9], v[10:11]
	v_fma_f64 v[10:11], -v[6:7], v[8:9], 1.0
	v_fmac_f64_e32 v[8:9], v[8:9], v[10:11]
	v_div_scale_f64 v[10:11], vcc, -1.0, v[14:15], -1.0
	v_mul_f64 v[16:17], v[10:11], v[8:9]
	v_fma_f64 v[6:7], -v[6:7], v[16:17], v[10:11]
	s_nop 1
	v_div_fmas_f64 v[6:7], v[6:7], v[8:9], v[16:17]
	v_div_fixup_f64 v[6:7], v[6:7], v[14:15], -1.0
	v_cmp_ngt_f64_e64 s[0:1], |v[6:7]|, s[0:1]
                                        ; implicit-def: $vgpr8_vgpr9
	s_and_saveexec_b64 s[2:3], s[0:1]
	s_xor_b64 s[0:1], exec, s[2:3]
; %bb.34:
	v_mul_f64 v[8:9], s[12:13], v[2:3]
                                        ; implicit-def: $vgpr6_vgpr7
                                        ; implicit-def: $vgpr2_vgpr3
; %bb.35:
	s_andn2_saveexec_b64 s[2:3], s[0:1]
	s_cbranch_execz .LBB0_37
; %bb.36:
	s_mov_b32 s0, 0x652b82fe
	v_mul_f64 v[8:9], s[12:13], v[6:7]
	s_mov_b32 s1, 0x3ff71547
	v_mul_f64 v[10:11], v[8:9], s[0:1]
	s_mov_b32 s0, 0xfefa39ef
	v_rndne_f64_e32 v[10:11], v[10:11]
	s_mov_b32 s1, 0xbfe62e42
	v_fma_f64 v[14:15], s[0:1], v[10:11], v[8:9]
	s_mov_b32 s0, 0x3b39803f
	s_mov_b32 s1, 0xbc7abc9e
	v_fmac_f64_e32 v[14:15], s[0:1], v[10:11]
	s_mov_b32 s0, 0x6a5dcb37
	v_mov_b32_e32 v16, 0xfca7ab0c
	v_mov_b32_e32 v17, 0x3e928af3
	s_mov_b32 s1, 0x3e5ade15
	v_fmac_f64_e32 v[16:17], s[0:1], v[14:15]
	v_mov_b32_e32 v18, 0x623fde64
	v_mov_b32_e32 v19, 0x3ec71dee
	v_fmac_f64_e32 v[18:19], v[14:15], v[16:17]
	v_mov_b32_e32 v16, 0x7c89e6b0
	v_mov_b32_e32 v17, 0x3efa0199
	;; [unrolled: 3-line block ×8, first 2 shown]
	v_fmac_f64_e32 v[16:17], v[14:15], v[18:19]
	s_mov_b32 s0, 0
	v_fma_f64 v[16:17], v[14:15], v[16:17], 1.0
	s_mov_b32 s1, 0x40900000
	v_fma_f64 v[14:15], v[14:15], v[16:17], 1.0
	v_cvt_i32_f64_e32 v10, v[10:11]
	v_cmp_nlt_f64_e32 vcc, s[0:1], v[8:9]
	s_mov_b32 s0, 0
	v_ldexp_f64 v[10:11], v[14:15], v10
	s_mov_b32 s1, 0xc090cc00
	v_add_f64 v[10:11], v[10:11], -1.0
	v_mov_b32_e32 v14, 0x7ff00000
	v_cmp_ngt_f64_e64 s[0:1], s[0:1], v[8:9]
	v_cndmask_b32_e32 v11, v14, v11, vcc
	v_mov_b32_e32 v14, 0xbff00000
	s_and_b64 vcc, s[0:1], vcc
	v_cndmask_b32_e64 v9, v14, v11, s[0:1]
	v_cndmask_b32_e32 v8, 0, v10, vcc
	v_mul_f64 v[2:3], v[2:3], v[8:9]
	v_div_scale_f64 v[8:9], s[0:1], v[6:7], v[6:7], v[2:3]
	v_rcp_f64_e32 v[10:11], v[8:9]
	s_nop 0
	v_fma_f64 v[14:15], -v[8:9], v[10:11], 1.0
	v_fmac_f64_e32 v[10:11], v[10:11], v[14:15]
	v_fma_f64 v[14:15], -v[8:9], v[10:11], 1.0
	v_fmac_f64_e32 v[10:11], v[10:11], v[14:15]
	v_div_scale_f64 v[14:15], vcc, v[2:3], v[6:7], v[2:3]
	v_mul_f64 v[16:17], v[14:15], v[10:11]
	v_fma_f64 v[8:9], -v[8:9], v[16:17], v[14:15]
	s_nop 1
	v_div_fmas_f64 v[8:9], v[8:9], v[10:11], v[16:17]
	v_div_fixup_f64 v[8:9], v[8:9], v[6:7], v[2:3]
.LBB0_37:
	s_or_b64 exec, exec, s[2:3]
	s_mov_b32 s0, 0xb6db6db7
	v_add_f64 v[2:3], v[70:71], v[8:9]
	s_mov_b32 s1, 0x4006db6d
	s_mov_b32 s2, 0x652b82fe
	global_store_dwordx2 v[78:79], v[2:3], off
	v_add_f64 v[2:3], v[96:97], s[0:1]
	s_mov_b32 s3, 0x3ff71547
	v_mul_f64 v[6:7], v[2:3], s[2:3]
	v_rndne_f64_e32 v[8:9], v[6:7]
	s_mov_b32 s0, 0xfca7ab0c
	v_fma_f64 v[10:11], s[4:5], v[8:9], v[2:3]
	s_mov_b32 s1, 0x3e928af3
	v_fmac_f64_e32 v[10:11], s[6:7], v[8:9]
	v_mov_b64_e32 v[6:7], s[0:1]
	v_fma_f64 v[14:15], s[8:9], v[10:11], v[6:7]
	v_fma_f64 v[14:15], v[10:11], v[14:15], s[14:15]
	;; [unrolled: 1-line block ×9, first 2 shown]
	v_fma_f64 v[14:15], v[10:11], v[14:15], 1.0
	v_fma_f64 v[10:11], v[10:11], v[14:15], 1.0
	v_cvt_i32_f64_e32 v8, v[8:9]
	v_ldexp_f64 v[8:9], v[10:11], v8
	v_add_f64 v[8:9], v[8:9], 1.0
	v_div_scale_f64 v[10:11], s[0:1], v[8:9], v[8:9], 1.0
	v_rcp_f64_e32 v[14:15], v[10:11]
	v_cmp_ngt_f64_e64 s[0:1], s[34:35], v[2:3]
	v_mov_b32_e32 v20, 0x7ff00000
	v_fma_f64 v[16:17], -v[10:11], v[14:15], 1.0
	v_fmac_f64_e32 v[14:15], v[14:15], v[16:17]
	v_fma_f64 v[16:17], -v[10:11], v[14:15], 1.0
	v_fmac_f64_e32 v[14:15], v[14:15], v[16:17]
	v_div_scale_f64 v[16:17], vcc, 1.0, v[8:9], 1.0
	v_mul_f64 v[18:19], v[16:17], v[14:15]
	v_fma_f64 v[10:11], -v[10:11], v[18:19], v[16:17]
	s_nop 1
	v_div_fmas_f64 v[10:11], v[10:11], v[14:15], v[18:19]
	v_div_fixup_f64 v[8:9], v[10:11], v[8:9], 1.0
	v_cmp_nlt_f64_e32 vcc, s[30:31], v[2:3]
	v_mov_b32_e32 v18, 0x3ff00000
	s_nop 0
	v_cndmask_b32_e32 v9, 0, v9, vcc
	s_and_b64 vcc, s[0:1], vcc
	v_cndmask_b32_e64 v9, v18, v9, s[0:1]
	s_mov_b32 s0, 0
	s_mov_b32 s1, 0x40080000
	v_add_f64 v[2:3], v[0:1], s[0:1]
	v_mul_f64 v[10:11], v[2:3], s[2:3]
	v_rndne_f64_e32 v[10:11], v[10:11]
	v_fma_f64 v[14:15], s[4:5], v[10:11], v[2:3]
	v_fmac_f64_e32 v[14:15], s[6:7], v[10:11]
	v_fma_f64 v[16:17], s[8:9], v[14:15], v[6:7]
	v_fma_f64 v[16:17], v[14:15], v[16:17], s[14:15]
	;; [unrolled: 1-line block ×9, first 2 shown]
	v_fma_f64 v[16:17], v[14:15], v[16:17], 1.0
	v_fma_f64 v[14:15], v[14:15], v[16:17], 1.0
	v_cvt_i32_f64_e32 v10, v[10:11]
	v_ldexp_f64 v[10:11], v[14:15], v10
	v_cndmask_b32_e32 v8, 0, v8, vcc
	v_add_f64 v[10:11], v[10:11], 1.0
	v_cmp_nlt_f64_e32 vcc, s[30:31], v[2:3]
	v_cmp_ngt_f64_e64 s[0:1], s[34:35], v[2:3]
	s_nop 0
	v_cndmask_b32_e32 v11, v20, v11, vcc
	s_and_b64 vcc, s[0:1], vcc
	v_cndmask_b32_e64 v3, v18, v11, s[0:1]
	s_mov_b32 s0, 0
	v_cndmask_b32_e32 v2, 0, v10, vcc
	s_mov_b32 s1, 0x40668000
	v_div_scale_f64 v[10:11], s[36:37], v[2:3], v[2:3], s[0:1]
	v_rcp_f64_e32 v[14:15], v[10:11]
	s_nop 0
	v_fma_f64 v[16:17], -v[10:11], v[14:15], 1.0
	v_fmac_f64_e32 v[14:15], v[14:15], v[16:17]
	v_fma_f64 v[16:17], -v[10:11], v[14:15], 1.0
	v_fmac_f64_e32 v[14:15], v[14:15], v[16:17]
	v_div_scale_f64 v[16:17], vcc, s[0:1], v[2:3], s[0:1]
	v_mul_f64 v[18:19], v[16:17], v[14:15]
	v_fma_f64 v[10:11], -v[10:11], v[18:19], v[16:17]
	s_nop 1
	v_div_fmas_f64 v[10:11], v[10:11], v[14:15], v[18:19]
	v_div_fixup_f64 v[10:11], v[10:11], v[2:3], s[0:1]
	s_mov_b32 s0, 0
	s_mov_b32 s1, 0x40340000
	v_add_f64 v[10:11], v[10:11], s[0:1]
	s_mov_b32 s0, 0xcccccccd
	s_mov_b32 s1, 0x3ff4cccc
	v_add_f64 v[14:15], -v[0:1], s[0:1]
	v_mul_f64 v[16:17], v[14:15], s[2:3]
	v_rndne_f64_e32 v[16:17], v[16:17]
	v_fma_f64 v[18:19], s[4:5], v[16:17], v[14:15]
	v_fmac_f64_e32 v[18:19], s[6:7], v[16:17]
	v_fma_f64 v[24:25], s[8:9], v[18:19], v[6:7]
	v_fma_f64 v[24:25], v[18:19], v[24:25], s[14:15]
	v_fma_f64 v[24:25], v[18:19], v[24:25], s[16:17]
	v_fma_f64 v[24:25], v[18:19], v[24:25], s[18:19]
	v_fma_f64 v[24:25], v[18:19], v[24:25], s[20:21]
	v_fma_f64 v[24:25], v[18:19], v[24:25], s[22:23]
	v_fma_f64 v[24:25], v[18:19], v[24:25], s[24:25]
	v_fma_f64 v[24:25], v[18:19], v[24:25], s[26:27]
	v_fma_f64 v[24:25], v[18:19], v[24:25], s[28:29]
	v_fma_f64 v[24:25], v[18:19], v[24:25], 1.0
	v_fma_f64 v[18:19], v[18:19], v[24:25], 1.0
	v_cvt_i32_f64_e32 v16, v[16:17]
	v_ldexp_f64 v[16:17], v[18:19], v16
	s_mov_b32 s0, 0
	v_add_f64 v[16:17], v[16:17], 1.0
	s_mov_b32 s1, 0x40690000
	v_div_scale_f64 v[18:19], s[36:37], v[16:17], v[16:17], s[0:1]
	v_rcp_f64_e32 v[24:25], v[18:19]
	s_nop 0
	v_fma_f64 v[26:27], -v[18:19], v[24:25], 1.0
	v_fmac_f64_e32 v[24:25], v[24:25], v[26:27]
	v_fma_f64 v[26:27], -v[18:19], v[24:25], 1.0
	v_fmac_f64_e32 v[24:25], v[24:25], v[26:27]
	v_div_scale_f64 v[26:27], vcc, s[0:1], v[16:17], s[0:1]
	v_mul_f64 v[34:35], v[26:27], v[24:25]
	v_fma_f64 v[18:19], -v[18:19], v[34:35], v[26:27]
	s_nop 1
	v_div_fmas_f64 v[18:19], v[18:19], v[24:25], v[34:35]
	v_div_fixup_f64 v[16:17], v[18:19], v[16:17], s[0:1]
	v_cmp_nlt_f64_e32 vcc, s[30:31], v[14:15]
	v_cmp_ngt_f64_e64 s[0:1], s[34:35], v[14:15]
	v_mov_b32_e32 v15, 0x40690000
	v_cndmask_b32_e32 v17, 0, v17, vcc
	s_and_b64 vcc, s[0:1], vcc
	v_cndmask_b32_e64 v15, v15, v17, s[0:1]
	s_mov_b32 s0, 0
	v_cndmask_b32_e32 v14, 0, v16, vcc
	s_mov_b32 s1, 0x403b0000
	v_add_f64 v[14:15], v[14:15], v[10:11]
	v_add_f64 v[10:11], v[4:5], s[0:1]
	s_mov_b32 s0, 0
	v_mul_f64 v[10:11], v[10:11], -v[10:11]
	s_mov_b32 s1, 0x406c2000
	v_div_scale_f64 v[16:17], s[36:37], s[0:1], s[0:1], v[10:11]
	v_rcp_f64_e32 v[18:19], v[16:17]
	s_nop 0
	v_fma_f64 v[24:25], -v[16:17], v[18:19], 1.0
	v_fmac_f64_e32 v[18:19], v[18:19], v[24:25]
	v_fma_f64 v[24:25], -v[16:17], v[18:19], 1.0
	v_fmac_f64_e32 v[18:19], v[18:19], v[24:25]
	v_div_scale_f64 v[24:25], vcc, v[10:11], s[0:1], v[10:11]
	v_mul_f64 v[26:27], v[24:25], v[18:19]
	v_fma_f64 v[16:17], -v[16:17], v[26:27], v[24:25]
	s_nop 1
	v_div_fmas_f64 v[16:17], v[16:17], v[18:19], v[26:27]
	v_div_fixup_f64 v[16:17], v[16:17], s[0:1], v[10:11]
	v_mul_f64 v[18:19], v[16:17], s[2:3]
	v_rndne_f64_e32 v[18:19], v[18:19]
	v_fma_f64 v[24:25], s[4:5], v[18:19], v[16:17]
	v_fmac_f64_e32 v[24:25], s[6:7], v[18:19]
	v_fmac_f64_e32 v[6:7], s[8:9], v[24:25]
	v_fma_f64 v[6:7], v[24:25], v[6:7], s[14:15]
	v_fma_f64 v[6:7], v[24:25], v[6:7], s[16:17]
	;; [unrolled: 1-line block ×8, first 2 shown]
	v_fma_f64 v[6:7], v[24:25], v[6:7], 1.0
	v_fma_f64 v[6:7], v[24:25], v[6:7], 1.0
	v_cvt_i32_f64_e32 v18, v[18:19]
	s_mov_b32 s0, 0
	v_ldexp_f64 v[6:7], v[6:7], v18
	s_mov_b32 s1, 0x40913a00
	v_mul_f64 v[6:7], v[6:7], s[0:1]
	v_cmp_nlt_f64_e32 vcc, s[30:31], v[16:17]
	v_cmp_ngt_f64_e64 s[0:1], s[34:35], v[16:17]
	s_nop 0
	v_cndmask_b32_e32 v7, v20, v7, vcc
	s_and_b64 vcc, s[0:1], vcc
	v_cndmask_b32_e32 v6, 0, v6, vcc
	v_cndmask_b32_e64 v7, 0, v7, s[0:1]
	v_add_f64 v[14:15], v[6:7], v[14:15]
	v_add_f64 v[6:7], v[8:9], -v[64:65]
	v_div_scale_f64 v[8:9], s[0:1], v[14:15], v[14:15], v[6:7]
	v_rcp_f64_e32 v[16:17], v[8:9]
	s_nop 0
	v_fma_f64 v[18:19], -v[8:9], v[16:17], 1.0
	v_fmac_f64_e32 v[16:17], v[16:17], v[18:19]
	v_fma_f64 v[18:19], -v[8:9], v[16:17], 1.0
	v_fmac_f64_e32 v[16:17], v[16:17], v[18:19]
	v_div_scale_f64 v[18:19], vcc, v[6:7], v[14:15], v[6:7]
	v_mul_f64 v[24:25], v[18:19], v[16:17]
	v_fma_f64 v[8:9], -v[8:9], v[24:25], v[18:19]
	s_nop 1
	v_div_fmas_f64 v[8:9], v[8:9], v[16:17], v[24:25]
	v_div_fixup_f64 v[6:7], v[8:9], v[14:15], v[6:7]
	v_div_scale_f64 v[8:9], s[0:1], v[14:15], v[14:15], -1.0
	v_rcp_f64_e32 v[16:17], v[8:9]
	s_mov_b32 s0, 0xe2308c3a
	s_mov_b32 s1, 0x3e45798e
	v_fma_f64 v[18:19], -v[8:9], v[16:17], 1.0
	v_fmac_f64_e32 v[16:17], v[16:17], v[18:19]
	v_fma_f64 v[18:19], -v[8:9], v[16:17], 1.0
	v_fmac_f64_e32 v[16:17], v[16:17], v[18:19]
	v_div_scale_f64 v[18:19], vcc, -1.0, v[14:15], -1.0
	v_mul_f64 v[24:25], v[18:19], v[16:17]
	v_fma_f64 v[8:9], -v[8:9], v[24:25], v[18:19]
	s_nop 1
	v_div_fmas_f64 v[8:9], v[8:9], v[16:17], v[24:25]
	v_div_fixup_f64 v[8:9], v[8:9], v[14:15], -1.0
	v_cmp_ngt_f64_e64 s[0:1], |v[8:9]|, s[0:1]
                                        ; implicit-def: $vgpr14_vgpr15
	s_and_saveexec_b64 s[2:3], s[0:1]
	s_xor_b64 s[0:1], exec, s[2:3]
; %bb.38:
	v_mul_f64 v[14:15], s[12:13], v[6:7]
                                        ; implicit-def: $vgpr8_vgpr9
                                        ; implicit-def: $vgpr6_vgpr7
; %bb.39:
	s_andn2_saveexec_b64 s[2:3], s[0:1]
	s_cbranch_execz .LBB0_41
; %bb.40:
	s_mov_b32 s0, 0x652b82fe
	v_mul_f64 v[14:15], s[12:13], v[8:9]
	s_mov_b32 s1, 0x3ff71547
	v_mul_f64 v[16:17], v[14:15], s[0:1]
	s_mov_b32 s0, 0xfefa39ef
	v_rndne_f64_e32 v[16:17], v[16:17]
	s_mov_b32 s1, 0xbfe62e42
	v_fma_f64 v[18:19], s[0:1], v[16:17], v[14:15]
	s_mov_b32 s0, 0x3b39803f
	s_mov_b32 s1, 0xbc7abc9e
	v_fmac_f64_e32 v[18:19], s[0:1], v[16:17]
	s_mov_b32 s0, 0x6a5dcb37
	v_mov_b32_e32 v24, 0xfca7ab0c
	v_mov_b32_e32 v25, 0x3e928af3
	s_mov_b32 s1, 0x3e5ade15
	v_fmac_f64_e32 v[24:25], s[0:1], v[18:19]
	v_mov_b32_e32 v26, 0x623fde64
	v_mov_b32_e32 v27, 0x3ec71dee
	v_fmac_f64_e32 v[26:27], v[18:19], v[24:25]
	v_mov_b32_e32 v24, 0x7c89e6b0
	v_mov_b32_e32 v25, 0x3efa0199
	;; [unrolled: 3-line block ×8, first 2 shown]
	v_fmac_f64_e32 v[24:25], v[18:19], v[26:27]
	s_mov_b32 s0, 0
	v_fma_f64 v[24:25], v[18:19], v[24:25], 1.0
	s_mov_b32 s1, 0x40900000
	v_fma_f64 v[18:19], v[18:19], v[24:25], 1.0
	v_cvt_i32_f64_e32 v16, v[16:17]
	v_cmp_nlt_f64_e32 vcc, s[0:1], v[14:15]
	s_mov_b32 s0, 0
	v_ldexp_f64 v[16:17], v[18:19], v16
	s_mov_b32 s1, 0xc090cc00
	v_add_f64 v[16:17], v[16:17], -1.0
	v_mov_b32_e32 v18, 0x7ff00000
	v_cmp_ngt_f64_e64 s[0:1], s[0:1], v[14:15]
	v_cndmask_b32_e32 v17, v18, v17, vcc
	v_mov_b32_e32 v18, 0xbff00000
	s_and_b64 vcc, s[0:1], vcc
	v_cndmask_b32_e64 v15, v18, v17, s[0:1]
	v_cndmask_b32_e32 v14, 0, v16, vcc
	v_mul_f64 v[6:7], v[6:7], v[14:15]
	v_div_scale_f64 v[14:15], s[0:1], v[8:9], v[8:9], v[6:7]
	v_rcp_f64_e32 v[16:17], v[14:15]
	s_nop 0
	v_fma_f64 v[18:19], -v[14:15], v[16:17], 1.0
	v_fmac_f64_e32 v[16:17], v[16:17], v[18:19]
	v_fma_f64 v[18:19], -v[14:15], v[16:17], 1.0
	v_fmac_f64_e32 v[16:17], v[16:17], v[18:19]
	v_div_scale_f64 v[18:19], vcc, v[6:7], v[8:9], v[6:7]
	v_mul_f64 v[24:25], v[18:19], v[16:17]
	v_fma_f64 v[14:15], -v[14:15], v[24:25], v[18:19]
	s_nop 1
	v_div_fmas_f64 v[14:15], v[14:15], v[16:17], v[24:25]
	v_div_fixup_f64 v[14:15], v[14:15], v[8:9], v[6:7]
.LBB0_41:
	s_or_b64 exec, exec, s[2:3]
	s_mov_b32 s0, 0
	s_mov_b32 s1, 0x40140000
	;; [unrolled: 1-line block ×3, first 2 shown]
	v_add_f64 v[6:7], v[64:65], v[14:15]
	v_add_f64 v[8:9], v[96:97], s[0:1]
	s_mov_b32 s3, 0x3ff71547
	global_store_dwordx2 v[56:57], v[6:7], off
	v_mul_f64 v[6:7], v[8:9], s[2:3]
	v_rndne_f64_e32 v[14:15], v[6:7]
	s_mov_b32 s0, 0xfca7ab0c
	v_fma_f64 v[16:17], s[4:5], v[14:15], v[8:9]
	s_mov_b32 s1, 0x3e928af3
	v_fmac_f64_e32 v[16:17], s[6:7], v[14:15]
	v_mov_b64_e32 v[6:7], s[0:1]
	v_fma_f64 v[18:19], s[8:9], v[16:17], v[6:7]
	v_fma_f64 v[18:19], v[16:17], v[18:19], s[14:15]
	;; [unrolled: 1-line block ×9, first 2 shown]
	v_fma_f64 v[18:19], v[16:17], v[18:19], 1.0
	v_fma_f64 v[16:17], v[16:17], v[18:19], 1.0
	v_cvt_i32_f64_e32 v14, v[14:15]
	v_ldexp_f64 v[14:15], v[16:17], v14
	s_mov_b32 s0, 0xd70a3d71
	v_add_f64 v[14:15], v[14:15], 1.0
	s_mov_b32 s1, 0x3fe570a3
	v_div_scale_f64 v[16:17], s[30:31], v[14:15], v[14:15], s[0:1]
	v_rcp_f64_e32 v[18:19], v[16:17]
	s_mov_b32 s30, 0
	s_mov_b32 s31, 0x40900000
	v_fma_f64 v[24:25], -v[16:17], v[18:19], 1.0
	v_fmac_f64_e32 v[18:19], v[18:19], v[24:25]
	v_fma_f64 v[24:25], -v[16:17], v[18:19], 1.0
	v_fmac_f64_e32 v[18:19], v[18:19], v[24:25]
	v_div_scale_f64 v[24:25], vcc, s[0:1], v[14:15], s[0:1]
	v_mul_f64 v[26:27], v[24:25], v[18:19]
	v_fma_f64 v[16:17], -v[16:17], v[26:27], v[24:25]
	s_nop 1
	v_div_fmas_f64 v[16:17], v[16:17], v[18:19], v[26:27]
	v_div_fixup_f64 v[14:15], v[16:17], v[14:15], s[0:1]
	s_mov_b32 s0, 0x51eb851f
	s_mov_b32 s1, 0x3fd51eb8
	v_add_f64 v[14:15], v[14:15], s[0:1]
	v_cmp_nlt_f64_e32 vcc, s[30:31], v[8:9]
	v_mov_b32_e32 v16, 0x51eb851f
	s_mov_b32 s0, 0
	v_cndmask_b32_e32 v14, v16, v14, vcc
	v_mov_b32_e32 v16, 0x3fd51eb8
	s_mov_b32 s1, 0x40040000
	v_cndmask_b32_e32 v15, v16, v15, vcc
	v_cmp_ngt_f64_e32 vcc, s[34:35], v[8:9]
	v_mov_b32_e32 v8, 0x3ff00000
	v_add_f64 v[0:1], -v[0:1], s[0:1]
	v_cndmask_b32_e32 v9, v8, v15, vcc
	v_cndmask_b32_e32 v8, 0, v14, vcc
	v_mul_f64 v[14:15], v[0:1], s[2:3]
	v_rndne_f64_e32 v[14:15], v[14:15]
	v_fma_f64 v[16:17], s[4:5], v[14:15], v[0:1]
	v_fmac_f64_e32 v[16:17], s[6:7], v[14:15]
	v_fma_f64 v[18:19], s[8:9], v[16:17], v[6:7]
	v_fma_f64 v[18:19], v[16:17], v[18:19], s[14:15]
	;; [unrolled: 1-line block ×9, first 2 shown]
	v_fma_f64 v[18:19], v[16:17], v[18:19], 1.0
	v_fma_f64 v[16:17], v[16:17], v[18:19], 1.0
	v_cvt_i32_f64_e32 v14, v[14:15]
	v_ldexp_f64 v[14:15], v[16:17], v14
	s_mov_b32 s0, 0
	v_add_f64 v[14:15], v[14:15], 1.0
	s_mov_b32 s1, 0x403f0000
	v_div_scale_f64 v[16:17], s[36:37], v[14:15], v[14:15], s[0:1]
	v_rcp_f64_e32 v[18:19], v[16:17]
	s_nop 0
	v_fma_f64 v[24:25], -v[16:17], v[18:19], 1.0
	v_fmac_f64_e32 v[18:19], v[18:19], v[24:25]
	v_fma_f64 v[24:25], -v[16:17], v[18:19], 1.0
	v_fmac_f64_e32 v[18:19], v[18:19], v[24:25]
	v_div_scale_f64 v[24:25], vcc, s[0:1], v[14:15], s[0:1]
	v_mul_f64 v[26:27], v[24:25], v[18:19]
	v_fma_f64 v[16:17], -v[16:17], v[26:27], v[24:25]
	s_nop 1
	v_div_fmas_f64 v[16:17], v[16:17], v[18:19], v[26:27]
	v_div_fixup_f64 v[14:15], v[16:17], v[14:15], s[0:1]
	v_cmp_nlt_f64_e32 vcc, s[30:31], v[0:1]
	v_cmp_ngt_f64_e64 s[0:1], s[34:35], v[0:1]
	v_mov_b32_e32 v1, 0x403f0000
	v_cndmask_b32_e32 v15, 0, v15, vcc
	s_and_b64 vcc, s[0:1], vcc
	v_cndmask_b32_e64 v1, v1, v15, s[0:1]
	s_mov_b32 s0, 0
	s_mov_b32 s1, 0x40540000
	v_cndmask_b32_e32 v0, 0, v14, vcc
	v_div_scale_f64 v[14:15], s[36:37], v[2:3], v[2:3], s[0:1]
	v_rcp_f64_e32 v[16:17], v[14:15]
	s_nop 0
	v_fma_f64 v[18:19], -v[14:15], v[16:17], 1.0
	v_fmac_f64_e32 v[16:17], v[16:17], v[18:19]
	v_fma_f64 v[18:19], -v[14:15], v[16:17], 1.0
	v_fmac_f64_e32 v[16:17], v[16:17], v[18:19]
	v_div_scale_f64 v[18:19], vcc, s[0:1], v[2:3], s[0:1]
	v_mul_f64 v[24:25], v[18:19], v[16:17]
	v_fma_f64 v[14:15], -v[14:15], v[24:25], v[18:19]
	s_nop 1
	v_div_fmas_f64 v[14:15], v[14:15], v[16:17], v[24:25]
	v_div_fixup_f64 v[2:3], v[14:15], v[2:3], s[0:1]
	s_mov_b32 s0, 0
	s_mov_b32 s1, 0x406e0000
	v_add_f64 v[0:1], v[0:1], v[2:3]
	v_div_scale_f64 v[2:3], s[36:37], s[0:1], s[0:1], v[10:11]
	v_rcp_f64_e32 v[14:15], v[2:3]
	s_nop 0
	v_fma_f64 v[16:17], -v[2:3], v[14:15], 1.0
	v_fmac_f64_e32 v[14:15], v[14:15], v[16:17]
	v_fma_f64 v[16:17], -v[2:3], v[14:15], 1.0
	v_fmac_f64_e32 v[14:15], v[14:15], v[16:17]
	v_div_scale_f64 v[16:17], vcc, v[10:11], s[0:1], v[10:11]
	v_mul_f64 v[18:19], v[16:17], v[14:15]
	v_fma_f64 v[2:3], -v[2:3], v[18:19], v[16:17]
	s_nop 1
	v_div_fmas_f64 v[2:3], v[2:3], v[14:15], v[18:19]
	v_div_fixup_f64 v[2:3], v[2:3], s[0:1], v[10:11]
	v_mul_f64 v[10:11], v[2:3], s[2:3]
	v_rndne_f64_e32 v[10:11], v[10:11]
	v_fma_f64 v[14:15], s[4:5], v[10:11], v[2:3]
	v_fmac_f64_e32 v[14:15], s[6:7], v[10:11]
	v_fmac_f64_e32 v[6:7], s[8:9], v[14:15]
	v_fma_f64 v[6:7], v[14:15], v[6:7], s[14:15]
	v_fma_f64 v[6:7], v[14:15], v[6:7], s[16:17]
	;; [unrolled: 1-line block ×8, first 2 shown]
	v_fma_f64 v[6:7], v[14:15], v[6:7], 1.0
	v_fma_f64 v[6:7], v[14:15], v[6:7], 1.0
	v_cvt_i32_f64_e32 v10, v[10:11]
	s_mov_b32 s0, 0
	v_ldexp_f64 v[6:7], v[6:7], v10
	s_mov_b32 s1, 0x40819000
	v_mul_f64 v[6:7], v[6:7], s[0:1]
	v_cmp_nlt_f64_e32 vcc, s[30:31], v[2:3]
	v_mov_b32_e32 v10, 0x7ff00000
	v_cmp_ngt_f64_e64 s[0:1], s[34:35], v[2:3]
	v_cndmask_b32_e32 v7, v10, v7, vcc
	s_and_b64 vcc, s[0:1], vcc
	v_cndmask_b32_e32 v2, 0, v6, vcc
	v_cndmask_b32_e64 v3, 0, v7, s[0:1]
	v_add_f64 v[2:3], v[2:3], v[0:1]
	v_add_f64 v[0:1], v[8:9], -v[66:67]
	v_div_scale_f64 v[6:7], s[0:1], v[2:3], v[2:3], v[0:1]
	v_rcp_f64_e32 v[8:9], v[6:7]
	s_nop 0
	v_fma_f64 v[10:11], -v[6:7], v[8:9], 1.0
	v_fmac_f64_e32 v[8:9], v[8:9], v[10:11]
	v_fma_f64 v[10:11], -v[6:7], v[8:9], 1.0
	v_fmac_f64_e32 v[8:9], v[8:9], v[10:11]
	v_div_scale_f64 v[10:11], vcc, v[0:1], v[2:3], v[0:1]
	v_mul_f64 v[14:15], v[10:11], v[8:9]
	v_fma_f64 v[6:7], -v[6:7], v[14:15], v[10:11]
	s_nop 1
	v_div_fmas_f64 v[6:7], v[6:7], v[8:9], v[14:15]
	v_div_fixup_f64 v[0:1], v[6:7], v[2:3], v[0:1]
	v_div_scale_f64 v[6:7], s[0:1], v[2:3], v[2:3], -1.0
	v_rcp_f64_e32 v[8:9], v[6:7]
	s_mov_b32 s0, 0xe2308c3a
	s_mov_b32 s1, 0x3e45798e
	v_fma_f64 v[10:11], -v[6:7], v[8:9], 1.0
	v_fmac_f64_e32 v[8:9], v[8:9], v[10:11]
	v_fma_f64 v[10:11], -v[6:7], v[8:9], 1.0
	v_fmac_f64_e32 v[8:9], v[8:9], v[10:11]
	v_div_scale_f64 v[10:11], vcc, -1.0, v[2:3], -1.0
	v_mul_f64 v[14:15], v[10:11], v[8:9]
	v_fma_f64 v[6:7], -v[6:7], v[14:15], v[10:11]
	s_nop 1
	v_div_fmas_f64 v[6:7], v[6:7], v[8:9], v[14:15]
	v_div_fixup_f64 v[2:3], v[6:7], v[2:3], -1.0
	v_cmp_ngt_f64_e64 s[0:1], |v[2:3]|, s[0:1]
                                        ; implicit-def: $vgpr6_vgpr7
	s_and_saveexec_b64 s[2:3], s[0:1]
	s_xor_b64 s[0:1], exec, s[2:3]
; %bb.42:
	v_mul_f64 v[6:7], s[12:13], v[0:1]
                                        ; implicit-def: $vgpr2_vgpr3
                                        ; implicit-def: $vgpr0_vgpr1
; %bb.43:
	s_andn2_saveexec_b64 s[2:3], s[0:1]
	s_cbranch_execz .LBB0_45
; %bb.44:
	s_mov_b32 s0, 0x652b82fe
	v_mul_f64 v[6:7], s[12:13], v[2:3]
	s_mov_b32 s1, 0x3ff71547
	v_mul_f64 v[8:9], v[6:7], s[0:1]
	s_mov_b32 s0, 0xfefa39ef
	v_rndne_f64_e32 v[8:9], v[8:9]
	s_mov_b32 s1, 0xbfe62e42
	v_fma_f64 v[10:11], s[0:1], v[8:9], v[6:7]
	s_mov_b32 s0, 0x3b39803f
	s_mov_b32 s1, 0xbc7abc9e
	v_fmac_f64_e32 v[10:11], s[0:1], v[8:9]
	s_mov_b32 s0, 0x6a5dcb37
	v_mov_b32_e32 v14, 0xfca7ab0c
	v_mov_b32_e32 v15, 0x3e928af3
	s_mov_b32 s1, 0x3e5ade15
	v_fmac_f64_e32 v[14:15], s[0:1], v[10:11]
	v_mov_b32_e32 v16, 0x623fde64
	v_mov_b32_e32 v17, 0x3ec71dee
	v_fmac_f64_e32 v[16:17], v[10:11], v[14:15]
	v_mov_b32_e32 v14, 0x7c89e6b0
	v_mov_b32_e32 v15, 0x3efa0199
	;; [unrolled: 3-line block ×8, first 2 shown]
	v_fmac_f64_e32 v[14:15], v[10:11], v[16:17]
	s_mov_b32 s0, 0
	v_fma_f64 v[14:15], v[10:11], v[14:15], 1.0
	s_mov_b32 s1, 0x40900000
	v_fma_f64 v[10:11], v[10:11], v[14:15], 1.0
	v_cvt_i32_f64_e32 v8, v[8:9]
	v_cmp_nlt_f64_e32 vcc, s[0:1], v[6:7]
	s_mov_b32 s0, 0
	v_ldexp_f64 v[8:9], v[10:11], v8
	s_mov_b32 s1, 0xc090cc00
	v_add_f64 v[8:9], v[8:9], -1.0
	v_mov_b32_e32 v10, 0x7ff00000
	v_cmp_ngt_f64_e64 s[0:1], s[0:1], v[6:7]
	v_cndmask_b32_e32 v9, v10, v9, vcc
	v_mov_b32_e32 v10, 0xbff00000
	s_and_b64 vcc, s[0:1], vcc
	v_cndmask_b32_e64 v7, v10, v9, s[0:1]
	v_cndmask_b32_e32 v6, 0, v8, vcc
	v_mul_f64 v[0:1], v[0:1], v[6:7]
	v_div_scale_f64 v[6:7], s[0:1], v[2:3], v[2:3], v[0:1]
	v_rcp_f64_e32 v[8:9], v[6:7]
	s_nop 0
	v_fma_f64 v[10:11], -v[6:7], v[8:9], 1.0
	v_fmac_f64_e32 v[8:9], v[8:9], v[10:11]
	v_fma_f64 v[10:11], -v[6:7], v[8:9], 1.0
	v_fmac_f64_e32 v[8:9], v[8:9], v[10:11]
	v_div_scale_f64 v[10:11], vcc, v[0:1], v[2:3], v[0:1]
	v_mul_f64 v[14:15], v[10:11], v[8:9]
	v_fma_f64 v[6:7], -v[6:7], v[14:15], v[10:11]
	s_nop 1
	v_div_fmas_f64 v[6:7], v[6:7], v[8:9], v[14:15]
	v_div_fixup_f64 v[6:7], v[6:7], v[2:3], v[0:1]
.LBB0_45:
	s_or_b64 exec, exec, s[2:3]
	s_mov_b32 s0, 0
	v_add_f64 v[0:1], v[66:67], v[6:7]
	v_mul_f64 v[26:27], v[72:73], v[72:73]
	s_mov_b32 s1, 0x40790000
	global_store_dwordx2 v[28:29], v[0:1], off
	v_fma_f64 v[0:1], v[26:27], s[0:1], 1.0
	s_mov_b32 s0, 0x33333333
	s_mov_b32 s1, 0x3fe33333
	v_div_scale_f64 v[2:3], s[2:3], v[0:1], v[0:1], s[0:1]
	v_rcp_f64_e32 v[6:7], v[2:3]
	s_nop 0
	v_fma_f64 v[8:9], -v[2:3], v[6:7], 1.0
	v_fmac_f64_e32 v[6:7], v[6:7], v[8:9]
	v_fma_f64 v[8:9], -v[2:3], v[6:7], 1.0
	v_fmac_f64_e32 v[6:7], v[6:7], v[8:9]
	v_div_scale_f64 v[8:9], vcc, s[0:1], v[0:1], s[0:1]
	v_mul_f64 v[10:11], v[8:9], v[6:7]
	v_fma_f64 v[2:3], -v[2:3], v[10:11], v[8:9]
	s_nop 1
	v_div_fmas_f64 v[2:3], v[2:3], v[6:7], v[10:11]
	v_div_fixup_f64 v[2:3], v[2:3], v[0:1], s[0:1]
	s_mov_b32 s0, 0x9999999a
	s_mov_b32 s1, 0x3fd99999
	v_add_f64 v[2:3], v[2:3], s[0:1]
	s_mov_b32 s0, 0
	s_mov_b32 s1, 0x40540000
	v_div_scale_f64 v[6:7], s[2:3], v[0:1], v[0:1], s[0:1]
	v_rcp_f64_e32 v[8:9], v[6:7]
	s_nop 0
	v_fma_f64 v[10:11], -v[6:7], v[8:9], 1.0
	v_fmac_f64_e32 v[8:9], v[8:9], v[10:11]
	v_fma_f64 v[10:11], -v[6:7], v[8:9], 1.0
	v_fmac_f64_e32 v[8:9], v[8:9], v[10:11]
	v_div_scale_f64 v[10:11], vcc, s[0:1], v[0:1], s[0:1]
	v_mul_f64 v[14:15], v[10:11], v[8:9]
	v_fma_f64 v[6:7], -v[6:7], v[14:15], v[10:11]
	s_nop 1
	v_div_fmas_f64 v[6:7], v[6:7], v[8:9], v[14:15]
	v_div_fixup_f64 v[0:1], v[6:7], v[0:1], s[0:1]
	v_add_f64 v[6:7], v[0:1], 2.0
	v_add_f64 v[0:1], v[2:3], -v[68:69]
	v_div_scale_f64 v[2:3], s[0:1], v[6:7], v[6:7], v[0:1]
	v_rcp_f64_e32 v[8:9], v[2:3]
	s_nop 0
	v_fma_f64 v[10:11], -v[2:3], v[8:9], 1.0
	v_fmac_f64_e32 v[8:9], v[8:9], v[10:11]
	v_fma_f64 v[10:11], -v[2:3], v[8:9], 1.0
	v_fmac_f64_e32 v[8:9], v[8:9], v[10:11]
	v_div_scale_f64 v[10:11], vcc, v[0:1], v[6:7], v[0:1]
	v_mul_f64 v[14:15], v[10:11], v[8:9]
	v_fma_f64 v[2:3], -v[2:3], v[14:15], v[10:11]
	s_nop 1
	v_div_fmas_f64 v[2:3], v[2:3], v[8:9], v[14:15]
	v_div_fixup_f64 v[0:1], v[2:3], v[6:7], v[0:1]
	v_div_scale_f64 v[2:3], s[0:1], v[6:7], v[6:7], -1.0
	v_rcp_f64_e32 v[8:9], v[2:3]
	s_mov_b32 s0, 0xe2308c3a
	s_mov_b32 s1, 0x3e45798e
	v_fma_f64 v[10:11], -v[2:3], v[8:9], 1.0
	v_fmac_f64_e32 v[8:9], v[8:9], v[10:11]
	v_fma_f64 v[10:11], -v[2:3], v[8:9], 1.0
	v_fmac_f64_e32 v[8:9], v[8:9], v[10:11]
	v_div_scale_f64 v[10:11], vcc, -1.0, v[6:7], -1.0
	v_mul_f64 v[14:15], v[10:11], v[8:9]
	v_fma_f64 v[2:3], -v[2:3], v[14:15], v[10:11]
	s_nop 1
	v_div_fmas_f64 v[2:3], v[2:3], v[8:9], v[14:15]
	v_div_fixup_f64 v[2:3], v[2:3], v[6:7], -1.0
	v_cmp_ngt_f64_e64 s[0:1], |v[2:3]|, s[0:1]
                                        ; implicit-def: $vgpr6_vgpr7
	s_and_saveexec_b64 s[2:3], s[0:1]
	s_xor_b64 s[0:1], exec, s[2:3]
; %bb.46:
	v_mul_f64 v[6:7], s[12:13], v[0:1]
                                        ; implicit-def: $vgpr2_vgpr3
                                        ; implicit-def: $vgpr0_vgpr1
; %bb.47:
	s_andn2_saveexec_b64 s[2:3], s[0:1]
	s_cbranch_execz .LBB0_49
; %bb.48:
	s_mov_b32 s0, 0x652b82fe
	v_mul_f64 v[6:7], s[12:13], v[2:3]
	s_mov_b32 s1, 0x3ff71547
	v_mul_f64 v[8:9], v[6:7], s[0:1]
	s_mov_b32 s0, 0xfefa39ef
	v_rndne_f64_e32 v[8:9], v[8:9]
	s_mov_b32 s1, 0xbfe62e42
	v_fma_f64 v[10:11], s[0:1], v[8:9], v[6:7]
	s_mov_b32 s0, 0x3b39803f
	s_mov_b32 s1, 0xbc7abc9e
	v_fmac_f64_e32 v[10:11], s[0:1], v[8:9]
	s_mov_b32 s0, 0x6a5dcb37
	v_mov_b32_e32 v14, 0xfca7ab0c
	v_mov_b32_e32 v15, 0x3e928af3
	s_mov_b32 s1, 0x3e5ade15
	v_fmac_f64_e32 v[14:15], s[0:1], v[10:11]
	v_mov_b32_e32 v16, 0x623fde64
	v_mov_b32_e32 v17, 0x3ec71dee
	v_fmac_f64_e32 v[16:17], v[10:11], v[14:15]
	v_mov_b32_e32 v14, 0x7c89e6b0
	v_mov_b32_e32 v15, 0x3efa0199
	;; [unrolled: 3-line block ×8, first 2 shown]
	v_fmac_f64_e32 v[14:15], v[10:11], v[16:17]
	s_mov_b32 s0, 0
	v_fma_f64 v[14:15], v[10:11], v[14:15], 1.0
	s_mov_b32 s1, 0x40900000
	v_fma_f64 v[10:11], v[10:11], v[14:15], 1.0
	v_cvt_i32_f64_e32 v8, v[8:9]
	v_cmp_nlt_f64_e32 vcc, s[0:1], v[6:7]
	s_mov_b32 s0, 0
	v_ldexp_f64 v[8:9], v[10:11], v8
	s_mov_b32 s1, 0xc090cc00
	v_add_f64 v[8:9], v[8:9], -1.0
	v_mov_b32_e32 v10, 0x7ff00000
	v_cmp_ngt_f64_e64 s[0:1], s[0:1], v[6:7]
	v_cndmask_b32_e32 v9, v10, v9, vcc
	v_mov_b32_e32 v10, 0xbff00000
	s_and_b64 vcc, s[0:1], vcc
	v_cndmask_b32_e64 v7, v10, v9, s[0:1]
	v_cndmask_b32_e32 v6, 0, v8, vcc
	v_mul_f64 v[0:1], v[0:1], v[6:7]
	v_div_scale_f64 v[6:7], s[0:1], v[2:3], v[2:3], v[0:1]
	v_rcp_f64_e32 v[8:9], v[6:7]
	s_nop 0
	v_fma_f64 v[10:11], -v[6:7], v[8:9], 1.0
	v_fmac_f64_e32 v[8:9], v[8:9], v[10:11]
	v_fma_f64 v[10:11], -v[6:7], v[8:9], 1.0
	v_fmac_f64_e32 v[8:9], v[8:9], v[10:11]
	v_div_scale_f64 v[10:11], vcc, v[0:1], v[2:3], v[0:1]
	v_mul_f64 v[14:15], v[10:11], v[8:9]
	v_fma_f64 v[6:7], -v[6:7], v[14:15], v[10:11]
	s_nop 1
	v_div_fmas_f64 v[6:7], v[6:7], v[8:9], v[14:15]
	v_div_fixup_f64 v[6:7], v[6:7], v[2:3], v[0:1]
.LBB0_49:
	s_or_b64 exec, exec, s[2:3]
	s_mov_b32 s2, 0x652b82fe
	v_add_f64 v[0:1], v[68:69], v[6:7]
	v_add_f64 v[2:3], v[22:23], 4.0
	s_mov_b32 s3, 0x3ff71547
	global_store_dwordx2 v[50:51], v[0:1], off
	v_mul_f64 v[0:1], v[2:3], s[2:3]
	v_rndne_f64_e32 v[6:7], v[0:1]
	s_mov_b32 s0, 0xfca7ab0c
	v_fma_f64 v[8:9], s[4:5], v[6:7], v[2:3]
	s_mov_b32 s1, 0x3e928af3
	v_fmac_f64_e32 v[8:9], s[6:7], v[6:7]
	v_mov_b64_e32 v[0:1], s[0:1]
	v_fma_f64 v[10:11], s[8:9], v[8:9], v[0:1]
	v_fma_f64 v[10:11], v[8:9], v[10:11], s[14:15]
	v_fma_f64 v[10:11], v[8:9], v[10:11], s[16:17]
	v_fma_f64 v[10:11], v[8:9], v[10:11], s[18:19]
	v_fma_f64 v[10:11], v[8:9], v[10:11], s[20:21]
	v_fma_f64 v[10:11], v[8:9], v[10:11], s[22:23]
	v_fma_f64 v[10:11], v[8:9], v[10:11], s[24:25]
	v_fma_f64 v[10:11], v[8:9], v[10:11], s[26:27]
	v_fma_f64 v[10:11], v[8:9], v[10:11], s[28:29]
	v_fma_f64 v[10:11], v[8:9], v[10:11], 1.0
	v_fma_f64 v[8:9], v[8:9], v[10:11], 1.0
	v_cvt_i32_f64_e32 v6, v[6:7]
	v_ldexp_f64 v[6:7], v[8:9], v6
	v_add_f64 v[6:7], v[6:7], 1.0
	v_div_scale_f64 v[8:9], s[0:1], v[6:7], v[6:7], 1.0
	v_rcp_f64_e32 v[10:11], v[8:9]
	s_mov_b32 s34, 0
	s_mov_b32 s30, 0
	;; [unrolled: 1-line block ×3, first 2 shown]
	v_fma_f64 v[14:15], -v[8:9], v[10:11], 1.0
	v_fmac_f64_e32 v[10:11], v[10:11], v[14:15]
	v_fma_f64 v[14:15], -v[8:9], v[10:11], 1.0
	v_fmac_f64_e32 v[10:11], v[10:11], v[14:15]
	v_div_scale_f64 v[14:15], vcc, 1.0, v[6:7], 1.0
	v_mul_f64 v[16:17], v[14:15], v[10:11]
	v_fma_f64 v[8:9], -v[8:9], v[16:17], v[14:15]
	s_mov_b32 s31, 0xc090cc00
	s_nop 0
	v_div_fmas_f64 v[8:9], v[8:9], v[10:11], v[16:17]
	v_div_fixup_f64 v[6:7], v[8:9], v[6:7], 1.0
	v_cmp_nlt_f64_e32 vcc, s[34:35], v[2:3]
	v_cmp_ngt_f64_e64 s[0:1], s[30:31], v[2:3]
	v_mov_b32_e32 v3, 0x3ff00000
	v_cndmask_b32_e32 v7, 0, v7, vcc
	s_and_b64 vcc, s[0:1], vcc
	v_cndmask_b32_e32 v2, 0, v6, vcc
	v_cndmask_b32_e64 v3, v3, v7, s[0:1]
	v_add_f64 v[6:7], v[22:23], -4.0
	v_mul_f64 v[8:9], v[6:7], s[2:3]
	v_rndne_f64_e32 v[8:9], v[8:9]
	v_fma_f64 v[10:11], s[4:5], v[8:9], v[6:7]
	v_fmac_f64_e32 v[10:11], s[6:7], v[8:9]
	v_fma_f64 v[14:15], s[8:9], v[10:11], v[0:1]
	v_fma_f64 v[14:15], v[10:11], v[14:15], s[14:15]
	;; [unrolled: 1-line block ×9, first 2 shown]
	v_fma_f64 v[14:15], v[10:11], v[14:15], 1.0
	v_fma_f64 v[10:11], v[10:11], v[14:15], 1.0
	v_cvt_i32_f64_e32 v8, v[8:9]
	v_ldexp_f64 v[8:9], v[10:11], v8
	s_mov_b32 s0, 0
	v_add_f64 v[8:9], v[8:9], 1.0
	s_mov_b32 s1, 0x40140000
	v_div_scale_f64 v[10:11], s[36:37], v[8:9], v[8:9], s[0:1]
	v_rcp_f64_e32 v[14:15], v[10:11]
	s_nop 0
	v_fma_f64 v[16:17], -v[10:11], v[14:15], 1.0
	v_fmac_f64_e32 v[14:15], v[14:15], v[16:17]
	v_fma_f64 v[16:17], -v[10:11], v[14:15], 1.0
	v_fmac_f64_e32 v[14:15], v[14:15], v[16:17]
	v_div_scale_f64 v[16:17], vcc, s[0:1], v[8:9], s[0:1]
	v_mul_f64 v[18:19], v[16:17], v[14:15]
	v_fma_f64 v[10:11], -v[10:11], v[18:19], v[16:17]
	s_nop 1
	v_div_fmas_f64 v[10:11], v[10:11], v[14:15], v[18:19]
	v_div_fixup_f64 v[8:9], v[10:11], v[8:9], s[0:1]
	s_mov_b32 s0, 0
	s_mov_b32 s1, 0x40080000
	v_add_f64 v[8:9], v[8:9], s[0:1]
	v_cmp_nlt_f64_e32 vcc, s[34:35], v[6:7]
	v_mov_b32_e32 v10, 0x40080000
	v_cmp_ngt_f64_e64 s[0:1], s[30:31], v[6:7]
	v_cndmask_b32_e32 v9, v10, v9, vcc
	v_mov_b32_e32 v7, 0x40200000
	s_and_b64 vcc, s[0:1], vcc
	v_cndmask_b32_e64 v7, v7, v9, s[0:1]
	s_mov_b32 s0, 0
	s_mov_b32 s1, 0x40468000
	v_cndmask_b32_e32 v6, 0, v8, vcc
	v_add_f64 v[8:9], v[4:5], s[0:1]
	s_mov_b32 s0, 0
	v_mul_f64 v[8:9], v[8:9], v[8:9]
	s_mov_b32 s1, 0xc0740000
	v_div_scale_f64 v[10:11], s[36:37], s[0:1], s[0:1], v[8:9]
	v_rcp_f64_e32 v[14:15], v[10:11]
	s_nop 0
	v_fma_f64 v[16:17], -v[10:11], v[14:15], 1.0
	v_fmac_f64_e32 v[14:15], v[14:15], v[16:17]
	v_fma_f64 v[16:17], -v[10:11], v[14:15], 1.0
	v_fmac_f64_e32 v[14:15], v[14:15], v[16:17]
	v_div_scale_f64 v[16:17], vcc, v[8:9], s[0:1], v[8:9]
	v_mul_f64 v[18:19], v[16:17], v[14:15]
	v_fma_f64 v[10:11], -v[10:11], v[18:19], v[16:17]
	s_nop 1
	v_div_fmas_f64 v[10:11], v[10:11], v[14:15], v[18:19]
	v_div_fixup_f64 v[8:9], v[10:11], s[0:1], v[8:9]
	v_mul_f64 v[10:11], v[8:9], s[2:3]
	v_rndne_f64_e32 v[10:11], v[10:11]
	v_fma_f64 v[14:15], s[4:5], v[10:11], v[8:9]
	v_fmac_f64_e32 v[14:15], s[6:7], v[10:11]
	v_fmac_f64_e32 v[0:1], s[8:9], v[14:15]
	v_fma_f64 v[0:1], v[14:15], v[0:1], s[14:15]
	v_fma_f64 v[0:1], v[14:15], v[0:1], s[16:17]
	;; [unrolled: 1-line block ×8, first 2 shown]
	v_fma_f64 v[0:1], v[14:15], v[0:1], 1.0
	v_fma_f64 v[0:1], v[14:15], v[0:1], 1.0
	v_cvt_i32_f64_e32 v10, v[10:11]
	s_mov_b32 s0, 0
	v_ldexp_f64 v[0:1], v[0:1], v10
	s_mov_b32 s1, 0x40554000
	v_mul_f64 v[0:1], v[0:1], s[0:1]
	v_cmp_nlt_f64_e32 vcc, s[34:35], v[8:9]
	v_mov_b32_e32 v10, 0x7ff00000
	v_cmp_ngt_f64_e64 s[0:1], s[30:31], v[8:9]
	v_cndmask_b32_e32 v1, v10, v1, vcc
	s_and_b64 vcc, s[0:1], vcc
	v_cndmask_b32_e32 v0, 0, v0, vcc
	v_cndmask_b32_e64 v1, 0, v1, s[0:1]
	v_add_f64 v[6:7], v[0:1], v[6:7]
	scratch_load_dwordx2 v[0:1], off, off   ; 8-byte Folded Reload
	s_waitcnt vmcnt(0)
	v_add_f64 v[0:1], v[2:3], -v[0:1]
	v_div_scale_f64 v[2:3], s[0:1], v[6:7], v[6:7], v[0:1]
	v_rcp_f64_e32 v[8:9], v[2:3]
	s_nop 0
	v_fma_f64 v[10:11], -v[2:3], v[8:9], 1.0
	v_fmac_f64_e32 v[8:9], v[8:9], v[10:11]
	v_fma_f64 v[10:11], -v[2:3], v[8:9], 1.0
	v_fmac_f64_e32 v[8:9], v[8:9], v[10:11]
	v_div_scale_f64 v[10:11], vcc, v[0:1], v[6:7], v[0:1]
	v_mul_f64 v[14:15], v[10:11], v[8:9]
	v_fma_f64 v[2:3], -v[2:3], v[14:15], v[10:11]
	s_nop 1
	v_div_fmas_f64 v[2:3], v[2:3], v[8:9], v[14:15]
	v_div_fixup_f64 v[0:1], v[2:3], v[6:7], v[0:1]
	v_div_scale_f64 v[2:3], s[0:1], v[6:7], v[6:7], -1.0
	v_rcp_f64_e32 v[8:9], v[2:3]
	s_mov_b32 s0, 0xe2308c3a
	s_mov_b32 s1, 0x3e45798e
	v_fma_f64 v[10:11], -v[2:3], v[8:9], 1.0
	v_fmac_f64_e32 v[8:9], v[8:9], v[10:11]
	v_fma_f64 v[10:11], -v[2:3], v[8:9], 1.0
	v_fmac_f64_e32 v[8:9], v[8:9], v[10:11]
	v_div_scale_f64 v[10:11], vcc, -1.0, v[6:7], -1.0
	v_mul_f64 v[14:15], v[10:11], v[8:9]
	v_fma_f64 v[2:3], -v[2:3], v[14:15], v[10:11]
	s_nop 1
	v_div_fmas_f64 v[2:3], v[2:3], v[8:9], v[14:15]
	v_div_fixup_f64 v[2:3], v[2:3], v[6:7], -1.0
	v_cmp_ngt_f64_e64 s[0:1], |v[2:3]|, s[0:1]
                                        ; implicit-def: $vgpr6_vgpr7
	s_and_saveexec_b64 s[2:3], s[0:1]
	s_xor_b64 s[0:1], exec, s[2:3]
; %bb.50:
	v_mul_f64 v[6:7], s[12:13], v[0:1]
                                        ; implicit-def: $vgpr2_vgpr3
                                        ; implicit-def: $vgpr0_vgpr1
; %bb.51:
	s_andn2_saveexec_b64 s[2:3], s[0:1]
	s_cbranch_execz .LBB0_53
; %bb.52:
	s_mov_b32 s0, 0x652b82fe
	v_mul_f64 v[6:7], s[12:13], v[2:3]
	s_mov_b32 s1, 0x3ff71547
	v_mul_f64 v[8:9], v[6:7], s[0:1]
	s_mov_b32 s0, 0xfefa39ef
	v_rndne_f64_e32 v[8:9], v[8:9]
	s_mov_b32 s1, 0xbfe62e42
	v_fma_f64 v[10:11], s[0:1], v[8:9], v[6:7]
	s_mov_b32 s0, 0x3b39803f
	s_mov_b32 s1, 0xbc7abc9e
	v_fmac_f64_e32 v[10:11], s[0:1], v[8:9]
	s_mov_b32 s0, 0x6a5dcb37
	v_mov_b32_e32 v14, 0xfca7ab0c
	v_mov_b32_e32 v15, 0x3e928af3
	s_mov_b32 s1, 0x3e5ade15
	v_fmac_f64_e32 v[14:15], s[0:1], v[10:11]
	v_mov_b32_e32 v16, 0x623fde64
	v_mov_b32_e32 v17, 0x3ec71dee
	v_fmac_f64_e32 v[16:17], v[10:11], v[14:15]
	v_mov_b32_e32 v14, 0x7c89e6b0
	v_mov_b32_e32 v15, 0x3efa0199
	;; [unrolled: 3-line block ×8, first 2 shown]
	v_fmac_f64_e32 v[14:15], v[10:11], v[16:17]
	s_mov_b32 s0, 0
	v_fma_f64 v[14:15], v[10:11], v[14:15], 1.0
	s_mov_b32 s1, 0x40900000
	v_fma_f64 v[10:11], v[10:11], v[14:15], 1.0
	v_cvt_i32_f64_e32 v8, v[8:9]
	v_cmp_nlt_f64_e32 vcc, s[0:1], v[6:7]
	s_mov_b32 s0, 0
	v_ldexp_f64 v[8:9], v[10:11], v8
	s_mov_b32 s1, 0xc090cc00
	v_add_f64 v[8:9], v[8:9], -1.0
	v_mov_b32_e32 v10, 0x7ff00000
	v_cmp_ngt_f64_e64 s[0:1], s[0:1], v[6:7]
	v_cndmask_b32_e32 v9, v10, v9, vcc
	v_mov_b32_e32 v10, 0xbff00000
	s_and_b64 vcc, s[0:1], vcc
	v_cndmask_b32_e64 v7, v10, v9, s[0:1]
	v_cndmask_b32_e32 v6, 0, v8, vcc
	v_mul_f64 v[0:1], v[0:1], v[6:7]
	v_div_scale_f64 v[6:7], s[0:1], v[2:3], v[2:3], v[0:1]
	v_rcp_f64_e32 v[8:9], v[6:7]
	s_nop 0
	v_fma_f64 v[10:11], -v[6:7], v[8:9], 1.0
	v_fmac_f64_e32 v[8:9], v[8:9], v[10:11]
	v_fma_f64 v[10:11], -v[6:7], v[8:9], 1.0
	v_fmac_f64_e32 v[8:9], v[8:9], v[10:11]
	v_div_scale_f64 v[10:11], vcc, v[0:1], v[2:3], v[0:1]
	v_mul_f64 v[14:15], v[10:11], v[8:9]
	v_fma_f64 v[6:7], -v[6:7], v[14:15], v[10:11]
	s_nop 1
	v_div_fmas_f64 v[6:7], v[6:7], v[8:9], v[14:15]
	v_div_fixup_f64 v[6:7], v[6:7], v[2:3], v[0:1]
.LBB0_53:
	s_or_b64 exec, exec, s[2:3]
	scratch_load_dwordx2 v[0:1], off, off   ; 8-byte Folded Reload
	s_mov_b32 s0, 0xaaaaaaab
	s_mov_b32 s1, 0x400aaaaa
	;; [unrolled: 1-line block ×8, first 2 shown]
	s_waitcnt vmcnt(0)
	v_add_f64 v[0:1], v[0:1], v[6:7]
	global_store_dwordx2 v[94:95], v[0:1], off
	v_add_f64 v[0:1], -v[84:85], s[0:1]
	v_mul_f64 v[2:3], v[0:1], s[2:3]
	v_rndne_f64_e32 v[2:3], v[2:3]
	s_mov_b32 s0, 0xfca7ab0c
	v_fma_f64 v[6:7], s[4:5], v[2:3], v[0:1]
	s_mov_b32 s1, 0x3e928af3
	v_fmac_f64_e32 v[6:7], s[6:7], v[2:3]
	v_mov_b64_e32 v[8:9], s[0:1]
	v_fma_f64 v[10:11], s[8:9], v[6:7], v[8:9]
	v_fma_f64 v[10:11], v[6:7], v[10:11], s[14:15]
	;; [unrolled: 1-line block ×9, first 2 shown]
	v_fma_f64 v[10:11], v[6:7], v[10:11], 1.0
	v_fma_f64 v[6:7], v[6:7], v[10:11], 1.0
	v_cvt_i32_f64_e32 v2, v[2:3]
	v_ldexp_f64 v[2:3], v[6:7], v2
	v_add_f64 v[2:3], v[2:3], 1.0
	v_div_scale_f64 v[6:7], s[0:1], v[2:3], v[2:3], 1.0
	v_rcp_f64_e32 v[10:11], v[6:7]
	v_cmp_ngt_f64_e64 s[0:1], s[34:35], v[0:1]
	v_fma_f64 v[14:15], -v[6:7], v[10:11], 1.0
	v_fmac_f64_e32 v[10:11], v[10:11], v[14:15]
	v_fma_f64 v[14:15], -v[6:7], v[10:11], 1.0
	v_fmac_f64_e32 v[10:11], v[10:11], v[14:15]
	v_div_scale_f64 v[14:15], vcc, 1.0, v[2:3], 1.0
	v_mul_f64 v[16:17], v[14:15], v[10:11]
	v_fma_f64 v[6:7], -v[6:7], v[16:17], v[14:15]
	s_nop 1
	v_div_fmas_f64 v[6:7], v[6:7], v[10:11], v[16:17]
	v_div_fixup_f64 v[2:3], v[6:7], v[2:3], 1.0
	v_cmp_nlt_f64_e32 vcc, s[30:31], v[0:1]
	v_mov_b32_e32 v1, 0x3ff00000
	s_nop 0
	v_cndmask_b32_e32 v3, 0, v3, vcc
	s_and_b64 vcc, s[0:1], vcc
	v_cndmask_b32_e64 v1, v1, v3, s[0:1]
	s_mov_b32 s0, 0
	s_mov_b32 s1, 0x40440000
	v_cndmask_b32_e32 v0, 0, v2, vcc
	v_add_f64 v[2:3], v[4:5], s[0:1]
	s_mov_b32 s0, 0
	v_mul_f64 v[2:3], v[2:3], v[2:3]
	s_mov_b32 s1, 0xc09c2000
	v_div_scale_f64 v[6:7], s[36:37], s[0:1], s[0:1], v[2:3]
	v_rcp_f64_e32 v[10:11], v[6:7]
	v_add_f64 v[0:1], v[0:1], -v[58:59]
	v_fma_f64 v[14:15], -v[6:7], v[10:11], 1.0
	v_fmac_f64_e32 v[10:11], v[10:11], v[14:15]
	v_fma_f64 v[14:15], -v[6:7], v[10:11], 1.0
	v_fmac_f64_e32 v[10:11], v[10:11], v[14:15]
	v_div_scale_f64 v[14:15], vcc, v[2:3], s[0:1], v[2:3]
	v_mul_f64 v[16:17], v[14:15], v[10:11]
	v_fma_f64 v[6:7], -v[6:7], v[16:17], v[14:15]
	s_nop 1
	v_div_fmas_f64 v[6:7], v[6:7], v[10:11], v[16:17]
	v_div_fixup_f64 v[2:3], v[6:7], s[0:1], v[2:3]
	v_mul_f64 v[6:7], v[2:3], s[2:3]
	v_rndne_f64_e32 v[6:7], v[6:7]
	v_fma_f64 v[10:11], s[4:5], v[6:7], v[2:3]
	v_fmac_f64_e32 v[10:11], s[6:7], v[6:7]
	v_fmac_f64_e32 v[8:9], s[8:9], v[10:11]
	v_fma_f64 v[8:9], v[10:11], v[8:9], s[14:15]
	v_fma_f64 v[8:9], v[10:11], v[8:9], s[16:17]
	;; [unrolled: 1-line block ×8, first 2 shown]
	v_fma_f64 v[8:9], v[10:11], v[8:9], 1.0
	v_fma_f64 v[8:9], v[10:11], v[8:9], 1.0
	v_cvt_i32_f64_e32 v6, v[6:7]
	v_ldexp_f64 v[6:7], v[8:9], v6
	v_mov_b32_e32 v8, 0x9999999a
	v_mov_b32_e32 v9, 0x3fe99999
	v_mov_b64_e32 v[10:11], v[8:9]
	v_fmac_f64_e32 v[10:11], 0x40230000, v[6:7]
	v_cmp_nlt_f64_e32 vcc, s[30:31], v[2:3]
	v_mov_b32_e32 v7, 0x7ff00000
	s_nop 0
	v_cndmask_b32_e32 v6, 0, v10, vcc
	v_cndmask_b32_e32 v7, v7, v11, vcc
	v_cmp_ngt_f64_e32 vcc, s[34:35], v[2:3]
	s_nop 1
	v_cndmask_b32_e32 v7, v9, v7, vcc
	v_cndmask_b32_e32 v6, v8, v6, vcc
	v_div_scale_f64 v[2:3], s[0:1], v[6:7], v[6:7], v[0:1]
	v_rcp_f64_e32 v[8:9], v[2:3]
	s_nop 0
	v_fma_f64 v[10:11], -v[2:3], v[8:9], 1.0
	v_fmac_f64_e32 v[8:9], v[8:9], v[10:11]
	v_fma_f64 v[10:11], -v[2:3], v[8:9], 1.0
	v_fmac_f64_e32 v[8:9], v[8:9], v[10:11]
	v_div_scale_f64 v[10:11], vcc, v[0:1], v[6:7], v[0:1]
	v_mul_f64 v[14:15], v[10:11], v[8:9]
	v_fma_f64 v[2:3], -v[2:3], v[14:15], v[10:11]
	s_nop 1
	v_div_fmas_f64 v[2:3], v[2:3], v[8:9], v[14:15]
	v_div_fixup_f64 v[2:3], v[2:3], v[6:7], v[0:1]
	v_div_scale_f64 v[0:1], s[0:1], v[6:7], v[6:7], -1.0
	v_rcp_f64_e32 v[8:9], v[0:1]
	s_mov_b32 s0, 0xe2308c3a
	s_mov_b32 s1, 0x3e45798e
	v_fma_f64 v[10:11], -v[0:1], v[8:9], 1.0
	v_fmac_f64_e32 v[8:9], v[8:9], v[10:11]
	v_fma_f64 v[10:11], -v[0:1], v[8:9], 1.0
	v_fmac_f64_e32 v[8:9], v[8:9], v[10:11]
	v_div_scale_f64 v[10:11], vcc, -1.0, v[6:7], -1.0
	v_mul_f64 v[14:15], v[10:11], v[8:9]
	v_fma_f64 v[0:1], -v[0:1], v[14:15], v[10:11]
	s_nop 1
	v_div_fmas_f64 v[0:1], v[0:1], v[8:9], v[14:15]
	v_div_fixup_f64 v[6:7], v[0:1], v[6:7], -1.0
	v_cmp_ngt_f64_e64 s[0:1], |v[6:7]|, s[0:1]
                                        ; implicit-def: $vgpr0_vgpr1
	s_and_saveexec_b64 s[2:3], s[0:1]
	s_xor_b64 s[0:1], exec, s[2:3]
; %bb.54:
	v_mul_f64 v[0:1], s[12:13], v[2:3]
                                        ; implicit-def: $vgpr6_vgpr7
                                        ; implicit-def: $vgpr2_vgpr3
; %bb.55:
	s_andn2_saveexec_b64 s[2:3], s[0:1]
	s_cbranch_execz .LBB0_57
; %bb.56:
	s_mov_b32 s0, 0x652b82fe
	v_mul_f64 v[0:1], s[12:13], v[6:7]
	s_mov_b32 s1, 0x3ff71547
	v_mul_f64 v[8:9], v[0:1], s[0:1]
	s_mov_b32 s0, 0xfefa39ef
	v_rndne_f64_e32 v[8:9], v[8:9]
	s_mov_b32 s1, 0xbfe62e42
	v_fma_f64 v[10:11], s[0:1], v[8:9], v[0:1]
	s_mov_b32 s0, 0x3b39803f
	s_mov_b32 s1, 0xbc7abc9e
	v_fmac_f64_e32 v[10:11], s[0:1], v[8:9]
	s_mov_b32 s0, 0x6a5dcb37
	v_mov_b32_e32 v14, 0xfca7ab0c
	v_mov_b32_e32 v15, 0x3e928af3
	s_mov_b32 s1, 0x3e5ade15
	v_fmac_f64_e32 v[14:15], s[0:1], v[10:11]
	v_mov_b32_e32 v16, 0x623fde64
	v_mov_b32_e32 v17, 0x3ec71dee
	v_fmac_f64_e32 v[16:17], v[10:11], v[14:15]
	v_mov_b32_e32 v14, 0x7c89e6b0
	v_mov_b32_e32 v15, 0x3efa0199
	;; [unrolled: 3-line block ×8, first 2 shown]
	v_fmac_f64_e32 v[14:15], v[10:11], v[16:17]
	s_mov_b32 s0, 0
	v_fma_f64 v[14:15], v[10:11], v[14:15], 1.0
	s_mov_b32 s1, 0x40900000
	v_fma_f64 v[10:11], v[10:11], v[14:15], 1.0
	v_cvt_i32_f64_e32 v8, v[8:9]
	v_cmp_nlt_f64_e32 vcc, s[0:1], v[0:1]
	s_mov_b32 s0, 0
	v_ldexp_f64 v[8:9], v[10:11], v8
	s_mov_b32 s1, 0xc090cc00
	v_add_f64 v[8:9], v[8:9], -1.0
	v_mov_b32_e32 v10, 0x7ff00000
	v_cmp_ngt_f64_e64 s[0:1], s[0:1], v[0:1]
	v_cndmask_b32_e32 v9, v10, v9, vcc
	v_mov_b32_e32 v10, 0xbff00000
	s_and_b64 vcc, s[0:1], vcc
	v_cndmask_b32_e64 v1, v10, v9, s[0:1]
	v_cndmask_b32_e32 v0, 0, v8, vcc
	v_mul_f64 v[0:1], v[2:3], v[0:1]
	v_div_scale_f64 v[2:3], s[0:1], v[6:7], v[6:7], v[0:1]
	v_rcp_f64_e32 v[8:9], v[2:3]
	s_nop 0
	v_fma_f64 v[10:11], -v[2:3], v[8:9], 1.0
	v_fmac_f64_e32 v[8:9], v[8:9], v[10:11]
	v_fma_f64 v[10:11], -v[2:3], v[8:9], 1.0
	v_fmac_f64_e32 v[8:9], v[8:9], v[10:11]
	v_div_scale_f64 v[10:11], vcc, v[0:1], v[6:7], v[0:1]
	v_mul_f64 v[14:15], v[10:11], v[8:9]
	v_fma_f64 v[2:3], -v[2:3], v[14:15], v[10:11]
	s_nop 1
	v_div_fmas_f64 v[2:3], v[2:3], v[8:9], v[14:15]
	v_div_fixup_f64 v[0:1], v[2:3], v[6:7], v[0:1]
.LBB0_57:
	s_or_b64 exec, exec, s[2:3]
	scratch_load_dwordx2 v[2:3], off, off offset:64 ; 8-byte Folded Reload
	scratch_load_dwordx2 v[6:7], off, off offset:72 ; 8-byte Folded Reload
	;; [unrolled: 1-line block ×3, first 2 shown]
	s_mov_b32 s3, 0x3fe62e42
	s_mov_b32 s2, 0xfefa39ef
	;; [unrolled: 1-line block ×4, first 2 shown]
	v_add_f64 v[0:1], v[58:59], v[0:1]
	global_store_dwordx2 v[12:13], v[0:1], off
	s_mov_b32 s6, 0x652b82fe
	s_mov_b32 s7, 0x3ff71547
	v_mul_f64 v[114:115], v[46:47], v[46:47]
	v_mul_f64 v[0:1], v[46:47], v[114:115]
	scratch_store_dwordx2 off, v[0:1], off offset:384 ; 8-byte Folded Spill
	scratch_load_dwordx2 v[78:79], off, off offset:104 ; 8-byte Folded Reload
	v_mul_f64 v[44:45], v[54:55], v[54:55]
	scratch_store_dwordx2 off, v[58:59], off offset:216 ; 8-byte Folded Spill
	scratch_store_dwordx2 off, v[48:49], off offset:160 ; 8-byte Folded Spill
	;; [unrolled: 1-line block ×3, first 2 shown]
	v_mul_f64 v[58:59], v[60:61], v[60:61]
	v_mov_b64_e32 v[84:85], v[62:63]
	v_add_f64 v[120:121], v[42:43], v[42:43]
	s_waitcnt vmcnt(7)
	v_mul_f64 v[28:29], v[2:3], v[6:7]
	v_mul_f64 v[2:3], v[2:3], 0.5
	v_mul_f64 v[10:11], v[2:3], v[6:7]
	v_div_scale_f64 v[2:3], s[0:1], v[54:55], v[54:55], v[52:53]
	v_rcp_f64_e32 v[6:7], v[2:3]
	s_mov_b32 s0, 0x55555555
	s_mov_b32 s1, 0x3fe55555
	v_fma_f64 v[8:9], -v[2:3], v[6:7], 1.0
	v_fmac_f64_e32 v[6:7], v[6:7], v[8:9]
	v_fma_f64 v[8:9], -v[2:3], v[6:7], 1.0
	v_fmac_f64_e32 v[6:7], v[6:7], v[8:9]
	v_div_scale_f64 v[8:9], vcc, v[52:53], v[54:55], v[52:53]
	v_mul_f64 v[14:15], v[8:9], v[6:7]
	v_fma_f64 v[2:3], -v[2:3], v[14:15], v[8:9]
	s_nop 1
	v_div_fmas_f64 v[2:3], v[2:3], v[6:7], v[14:15]
	v_div_fixup_f64 v[2:3], v[2:3], v[54:55], v[52:53]
	v_frexp_mant_f64_e32 v[6:7], v[2:3]
	v_cmp_gt_f64_e32 vcc, s[0:1], v[6:7]
	v_frexp_exp_i32_f64_e32 v8, v[2:3]
	s_mov_b32 s0, 0xbf559e2b
	v_cndmask_b32_e64 v9, 0, 1, vcc
	v_ldexp_f64 v[6:7], v[6:7], v9
	v_add_f64 v[14:15], v[6:7], 1.0
	v_add_f64 v[16:17], v[14:15], -1.0
	v_subbrev_co_u32_e32 v20, vcc, 0, v8, vcc
	v_add_f64 v[8:9], v[6:7], -1.0
	v_add_f64 v[6:7], v[6:7], -v[16:17]
	v_rcp_f64_e32 v[16:17], v[14:15]
	s_mov_b32 s1, 0x3fc3ab76
	v_fma_f64 v[18:19], -v[14:15], v[16:17], 1.0
	v_fmac_f64_e32 v[16:17], v[18:19], v[16:17]
	v_fma_f64 v[18:19], -v[14:15], v[16:17], 1.0
	v_fmac_f64_e32 v[16:17], v[18:19], v[16:17]
	v_mul_f64 v[18:19], v[8:9], v[16:17]
	v_mul_f64 v[22:23], v[14:15], v[18:19]
	v_fma_f64 v[14:15], v[18:19], v[14:15], -v[22:23]
	v_fmac_f64_e32 v[14:15], v[18:19], v[6:7]
	v_add_f64 v[6:7], v[22:23], v[14:15]
	v_add_f64 v[24:25], v[8:9], -v[6:7]
	v_add_f64 v[22:23], v[6:7], -v[22:23]
	;; [unrolled: 1-line block ×5, first 2 shown]
	v_add_f64 v[6:7], v[8:9], v[6:7]
	v_add_f64 v[6:7], v[24:25], v[6:7]
	v_mul_f64 v[6:7], v[16:17], v[6:7]
	v_add_f64 v[8:9], v[18:19], v[6:7]
	v_add_f64 v[14:15], v[8:9], -v[18:19]
	v_add_f64 v[6:7], v[6:7], -v[14:15]
	v_mul_f64 v[14:15], v[8:9], v[8:9]
	v_mov_b32_e32 v16, 0x6b47b09a
	v_mov_b32_e32 v17, 0x3fc38538
	v_fmac_f64_e32 v[16:17], s[0:1], v[14:15]
	v_mov_b32_e32 v18, 0xd7f4df2e
	v_mov_b32_e32 v19, 0x3fc7474d
	v_fmac_f64_e32 v[18:19], v[14:15], v[16:17]
	;; [unrolled: 3-line block ×6, first 2 shown]
	v_ldexp_f64 v[16:17], v[8:9], 1
	v_mul_f64 v[8:9], v[8:9], v[14:15]
	v_mul_f64 v[8:9], v[8:9], v[18:19]
	v_add_f64 v[14:15], v[16:17], v[8:9]
	v_add_f64 v[16:17], v[14:15], -v[16:17]
	v_ldexp_f64 v[6:7], v[6:7], 1
	v_add_f64 v[8:9], v[8:9], -v[16:17]
	v_add_f64 v[6:7], v[6:7], v[8:9]
	v_add_f64 v[8:9], v[14:15], v[6:7]
	v_add_f64 v[14:15], v[8:9], -v[14:15]
	v_add_f64 v[6:7], v[6:7], -v[14:15]
	v_cvt_f64_i32_e32 v[14:15], v20
	v_mul_f64 v[16:17], v[14:15], s[2:3]
	v_fma_f64 v[18:19], v[14:15], s[2:3], -v[16:17]
	v_fmac_f64_e32 v[18:19], s[4:5], v[14:15]
	v_add_f64 v[14:15], v[16:17], v[18:19]
	v_add_f64 v[16:17], v[14:15], -v[16:17]
	v_add_f64 v[16:17], v[18:19], -v[16:17]
	v_add_f64 v[18:19], v[14:15], v[8:9]
	v_add_f64 v[22:23], v[18:19], -v[14:15]
	v_add_f64 v[24:25], v[18:19], -v[22:23]
	;; [unrolled: 1-line block ×4, first 2 shown]
	v_add_f64 v[8:9], v[8:9], v[14:15]
	v_add_f64 v[14:15], v[16:17], v[6:7]
	v_add_f64 v[22:23], v[14:15], -v[16:17]
	v_add_f64 v[24:25], v[14:15], -v[22:23]
	v_add_f64 v[8:9], v[14:15], v[8:9]
	v_add_f64 v[16:17], v[16:17], -v[24:25]
	v_add_f64 v[6:7], v[6:7], -v[22:23]
	v_add_f64 v[14:15], v[18:19], v[8:9]
	v_add_f64 v[6:7], v[6:7], v[16:17]
	v_add_f64 v[16:17], v[14:15], -v[18:19]
	v_add_f64 v[8:9], v[8:9], -v[16:17]
	v_add_f64 v[6:7], v[6:7], v[8:9]
	s_movk_i32 s0, 0x204
	v_add_f64 v[6:7], v[14:15], v[6:7]
	v_cmp_class_f64_e64 vcc, v[2:3], s0
	v_mov_b32_e32 v8, 0xfff80000
	v_mov_b32_e32 v20, 0x7ff00000
	v_cndmask_b32_e32 v6, v6, v2, vcc
	v_cndmask_b32_e64 v7, -v7, -v3, vcc
	v_cmp_ngt_f64_e32 vcc, 0, v[2:3]
	s_mov_b32 s3, 0xbfe62e42
	s_mov_b32 s5, 0xbc7abc9e
	v_cndmask_b32_e32 v7, v8, v7, vcc
	v_cmp_nge_f64_e32 vcc, 0, v[2:3]
	s_nop 1
	v_cndmask_b32_e32 v6, 0, v6, vcc
	v_cmp_neq_f64_e32 vcc, 0, v[2:3]
	s_nop 1
	v_cndmask_b32_e32 v7, v20, v7, vcc
	v_mul_f64 v[2:3], v[10:11], v[6:7]
	v_div_scale_f64 v[6:7], s[0:1], v[42:43], v[42:43], v[2:3]
	v_rcp_f64_e32 v[8:9], v[6:7]
	s_nop 0
	v_fma_f64 v[14:15], -v[6:7], v[8:9], 1.0
	v_fmac_f64_e32 v[8:9], v[8:9], v[14:15]
	v_fma_f64 v[14:15], -v[6:7], v[8:9], 1.0
	v_fmac_f64_e32 v[8:9], v[8:9], v[14:15]
	v_div_scale_f64 v[14:15], vcc, v[2:3], v[42:43], v[2:3]
	v_mul_f64 v[16:17], v[14:15], v[8:9]
	v_fma_f64 v[6:7], -v[6:7], v[16:17], v[14:15]
	s_nop 1
	v_div_fmas_f64 v[6:7], v[6:7], v[8:9], v[16:17]
	v_div_fixup_f64 v[2:3], v[6:7], v[42:43], v[2:3]
	v_mul_f64 v[6:7], v[48:49], v[42:43]
	v_mul_f64 v[6:7], v[4:5], v[6:7]
	v_div_scale_f64 v[8:9], s[0:1], v[28:29], v[28:29], v[6:7]
	v_rcp_f64_e32 v[12:13], v[8:9]
	s_mov_b32 s0, 0xfca7ab0c
	s_mov_b32 s1, 0x3e928af3
	v_add_f64 v[2:3], v[4:5], v[2:3]
	v_fma_f64 v[14:15], -v[8:9], v[12:13], 1.0
	v_fmac_f64_e32 v[12:13], v[12:13], v[14:15]
	v_fma_f64 v[14:15], -v[8:9], v[12:13], 1.0
	v_fmac_f64_e32 v[12:13], v[12:13], v[14:15]
	v_div_scale_f64 v[14:15], vcc, v[6:7], v[28:29], v[6:7]
	v_mul_f64 v[16:17], v[14:15], v[12:13]
	v_fma_f64 v[8:9], -v[8:9], v[16:17], v[14:15]
	v_mov_b64_e32 v[14:15], s[0:1]
	s_nop 0
	v_div_fmas_f64 v[8:9], v[8:9], v[12:13], v[16:17]
	v_div_fixup_f64 v[6:7], v[8:9], v[28:29], v[6:7]
	v_mul_f64 v[8:9], v[6:7], s[6:7]
	v_rndne_f64_e32 v[8:9], v[8:9]
	v_fma_f64 v[12:13], s[2:3], v[8:9], v[6:7]
	v_fmac_f64_e32 v[12:13], s[4:5], v[8:9]
	v_fma_f64 v[16:17], s[8:9], v[12:13], v[14:15]
	v_fma_f64 v[16:17], v[12:13], v[16:17], s[14:15]
	;; [unrolled: 1-line block ×9, first 2 shown]
	v_fma_f64 v[16:17], v[12:13], v[16:17], 1.0
	s_waitcnt vmcnt(6)
	v_mul_f64 v[80:81], v[40:41], v[2:3]
	v_mul_f64 v[2:3], v[0:1], v[52:53]
	v_fma_f64 v[12:13], v[12:13], v[16:17], 1.0
	v_cvt_i32_f64_e32 v0, v[8:9]
	v_ldexp_f64 v[8:9], v[12:13], v0
	v_cmp_nlt_f64_e32 vcc, s[30:31], v[6:7]
	v_cmp_ngt_f64_e64 s[0:1], s[34:35], v[6:7]
	v_add_f64 v[12:13], v[48:49], -1.0
	v_cndmask_b32_e32 v0, v20, v9, vcc
	s_and_b64 vcc, s[0:1], vcc
	v_cndmask_b32_e32 v102, 0, v8, vcc
	v_mul_f64 v[8:9], v[12:13], v[42:43]
	v_mul_f64 v[8:9], v[4:5], v[8:9]
	v_cndmask_b32_e64 v103, 0, v0, s[0:1]
	v_div_scale_f64 v[18:19], s[0:1], v[28:29], v[28:29], v[8:9]
	v_rcp_f64_e32 v[22:23], v[18:19]
	v_mul_f64 v[6:7], v[88:89], v[88:89]
	v_mul_f64 v[16:17], v[88:89], v[6:7]
	v_add_f64 v[48:49], v[54:55], v[124:125]
	v_fma_f64 v[24:25], -v[18:19], v[22:23], 1.0
	v_fmac_f64_e32 v[22:23], v[22:23], v[24:25]
	v_fma_f64 v[24:25], -v[18:19], v[22:23], 1.0
	v_fmac_f64_e32 v[22:23], v[22:23], v[24:25]
	v_div_scale_f64 v[24:25], vcc, v[8:9], v[28:29], v[8:9]
	v_mul_f64 v[34:35], v[24:25], v[22:23]
	v_fma_f64 v[18:19], -v[18:19], v[34:35], v[24:25]
	v_add_f64 v[124:125], v[72:73], -v[54:55]
	s_nop 0
	v_div_fmas_f64 v[18:19], v[18:19], v[22:23], v[34:35]
	v_div_fixup_f64 v[8:9], v[18:19], v[28:29], v[8:9]
	v_mul_f64 v[18:19], v[8:9], s[6:7]
	v_rndne_f64_e32 v[18:19], v[18:19]
	v_fma_f64 v[22:23], s[2:3], v[18:19], v[8:9]
	v_fmac_f64_e32 v[22:23], s[4:5], v[18:19]
	v_fmac_f64_e32 v[14:15], s[8:9], v[22:23]
	v_fma_f64 v[14:15], v[22:23], v[14:15], s[14:15]
	v_fma_f64 v[14:15], v[22:23], v[14:15], s[16:17]
	;; [unrolled: 1-line block ×8, first 2 shown]
	v_fma_f64 v[14:15], v[22:23], v[14:15], 1.0
	v_fma_f64 v[14:15], v[22:23], v[14:15], 1.0
	v_cvt_i32_f64_e32 v0, v[18:19]
	v_ldexp_f64 v[14:15], v[14:15], v0
	v_cmp_nlt_f64_e32 vcc, s[30:31], v[8:9]
	v_cmp_ngt_f64_e64 s[0:1], s[34:35], v[8:9]
	s_nop 0
	v_cndmask_b32_e32 v0, v20, v15, vcc
	v_cndmask_b32_e64 v51, 0, v0, s[0:1]
	scratch_load_dwordx2 v[0:1], off, off offset:48 ; 8-byte Folded Reload
	s_waitcnt vmcnt(4)
	v_mul_f64 v[6:7], v[78:79], v[16:17]
	s_and_b64 vcc, s[0:1], vcc
	v_mul_f64 v[6:7], v[54:55], v[6:7]
	v_cndmask_b32_e32 v50, 0, v14, vcc
	v_mul_f64 v[6:7], v[6:7], v[50:51]
	v_fma_f64 v[2:3], v[2:3], v[102:103], -v[6:7]
	v_fma_f64 v[8:9], v[38:39], v[50:51], 1.0
	v_add_f64 v[6:7], v[126:127], v[52:53]
	scratch_store_dwordx2 off, v[2:3], off offset:400 ; 8-byte Folded Spill
	scratch_store_dwordx2 off, v[6:7], off offset:392 ; 8-byte Folded Spill
	;; [unrolled: 1-line block ×3, first 2 shown]
	v_mul_f64 v[6:7], v[6:7], v[8:9]
	v_mul_f64 v[8:9], v[90:91], v[90:91]
	v_fma_f64 v[8:9], v[90:91], v[8:9], v[16:17]
	v_mul_f64 v[56:57], v[8:9], v[6:7]
	scratch_store_dwordx2 off, v[8:9], off offset:416 ; 8-byte Folded Spill
	scratch_store_dwordx2 off, v[80:81], off offset:424 ; 8-byte Folded Spill
	s_waitcnt vmcnt(5)
	v_mul_f64 v[2:3], v[0:1], v[2:3]
	v_div_scale_f64 v[6:7], s[0:1], v[56:57], v[56:57], v[2:3]
	v_rcp_f64_e32 v[8:9], v[6:7]
	s_nop 0
	v_fma_f64 v[14:15], -v[6:7], v[8:9], 1.0
	v_fmac_f64_e32 v[8:9], v[8:9], v[14:15]
	v_fma_f64 v[14:15], -v[6:7], v[8:9], 1.0
	v_fmac_f64_e32 v[8:9], v[8:9], v[14:15]
	v_div_scale_f64 v[14:15], vcc, v[2:3], v[56:57], v[2:3]
	v_mul_f64 v[18:19], v[14:15], v[8:9]
	v_fma_f64 v[6:7], -v[6:7], v[18:19], v[14:15]
	s_nop 1
	v_div_fmas_f64 v[6:7], v[6:7], v[8:9], v[18:19]
	v_mul_f64 v[18:19], v[54:55], v[30:31]
	v_div_fixup_f64 v[22:23], v[6:7], v[56:57], v[2:3]
	v_div_scale_f64 v[2:3], s[0:1], v[48:49], v[48:49], v[18:19]
	v_rcp_f64_e32 v[6:7], v[2:3]
	s_nop 0
	v_fma_f64 v[8:9], -v[2:3], v[6:7], 1.0
	v_fmac_f64_e32 v[6:7], v[6:7], v[8:9]
	v_fma_f64 v[8:9], -v[2:3], v[6:7], 1.0
	v_fmac_f64_e32 v[6:7], v[6:7], v[8:9]
	v_div_scale_f64 v[8:9], vcc, v[18:19], v[48:49], v[18:19]
	v_mul_f64 v[14:15], v[8:9], v[6:7]
	v_fma_f64 v[2:3], -v[2:3], v[14:15], v[8:9]
	s_nop 1
	v_div_fmas_f64 v[2:3], v[2:3], v[6:7], v[14:15]
	v_div_fixup_f64 v[24:25], v[2:3], v[48:49], v[18:19]
	v_div_scale_f64 v[2:3], s[0:1], v[44:45], v[44:45], v[58:59]
	v_rcp_f64_e32 v[6:7], v[2:3]
	scratch_store_dwordx2 off, v[24:25], off offset:432 ; 8-byte Folded Spill
	v_fma_f64 v[8:9], -v[2:3], v[6:7], 1.0
	v_fmac_f64_e32 v[6:7], v[6:7], v[8:9]
	v_fma_f64 v[8:9], -v[2:3], v[6:7], 1.0
	v_fmac_f64_e32 v[6:7], v[6:7], v[8:9]
	v_div_scale_f64 v[8:9], vcc, v[58:59], v[44:45], v[58:59]
	v_mul_f64 v[14:15], v[8:9], v[6:7]
	v_fma_f64 v[2:3], -v[2:3], v[14:15], v[8:9]
	s_nop 1
	v_div_fmas_f64 v[2:3], v[2:3], v[6:7], v[14:15]
	v_div_fixup_f64 v[2:3], v[2:3], v[44:45], v[58:59]
	v_add_f64 v[60:61], v[2:3], 1.0
	v_div_scale_f64 v[2:3], s[0:1], v[60:61], v[60:61], v[86:87]
	v_rcp_f64_e32 v[6:7], v[2:3]
	v_mul_f64 v[44:45], v[54:55], v[44:45]
	v_fma_f64 v[8:9], -v[2:3], v[6:7], 1.0
	v_fmac_f64_e32 v[6:7], v[6:7], v[8:9]
	v_fma_f64 v[8:9], -v[2:3], v[6:7], 1.0
	v_fmac_f64_e32 v[6:7], v[6:7], v[8:9]
	v_div_scale_f64 v[8:9], vcc, v[86:87], v[60:61], v[86:87]
	v_mul_f64 v[14:15], v[8:9], v[6:7]
	v_fma_f64 v[2:3], -v[2:3], v[14:15], v[8:9]
	s_nop 1
	v_div_fmas_f64 v[2:3], v[2:3], v[6:7], v[14:15]
	v_mul_f64 v[6:7], v[62:63], v[92:93]
	v_add_f64 v[62:63], v[54:55], v[92:93]
	v_mul_f64 v[76:77], v[62:63], v[62:63]
	v_div_scale_f64 v[8:9], s[0:1], v[76:77], v[76:77], v[6:7]
	v_rcp_f64_e32 v[34:35], v[8:9]
	v_div_fixup_f64 v[2:3], v[2:3], v[60:61], v[86:87]
	v_add_f64 v[14:15], v[118:119], -v[54:55]
	v_mul_f64 v[62:63], v[62:63], v[76:77]
	v_fma_f64 v[36:37], -v[8:9], v[34:35], 1.0
	v_fmac_f64_e32 v[34:35], v[34:35], v[36:37]
	v_fma_f64 v[36:37], -v[8:9], v[34:35], 1.0
	v_fmac_f64_e32 v[34:35], v[34:35], v[36:37]
	v_div_scale_f64 v[36:37], vcc, v[6:7], v[76:77], v[6:7]
	v_mul_f64 v[126:127], v[36:37], v[34:35]
	v_fma_f64 v[8:9], -v[8:9], v[126:127], v[36:37]
	s_nop 1
	v_div_fmas_f64 v[8:9], v[8:9], v[34:35], v[126:127]
	v_div_fixup_f64 v[6:7], v[8:9], v[76:77], v[6:7]
	v_add_f64 v[126:127], v[6:7], 1.0
	v_div_scale_f64 v[6:7], s[0:1], v[126:127], v[126:127], 1.0
	v_rcp_f64_e32 v[8:9], v[6:7]
	s_nop 0
	v_fma_f64 v[34:35], -v[6:7], v[8:9], 1.0
	v_fmac_f64_e32 v[8:9], v[8:9], v[34:35]
	v_fma_f64 v[34:35], -v[6:7], v[8:9], 1.0
	v_fmac_f64_e32 v[8:9], v[8:9], v[34:35]
	v_div_scale_f64 v[34:35], vcc, 1.0, v[126:127], 1.0
	v_mul_f64 v[36:37], v[34:35], v[8:9]
	v_fma_f64 v[6:7], -v[6:7], v[36:37], v[34:35]
	s_nop 1
	v_div_fmas_f64 v[6:7], v[6:7], v[8:9], v[36:37]
	v_fma_f64 v[8:9], v[14:15], v[122:123], -v[2:3]
	v_mul_f64 v[8:9], v[108:109], v[8:9]
	v_div_scale_f64 v[34:35], s[0:1], v[100:101], v[100:101], v[8:9]
	v_rcp_f64_e32 v[36:37], v[34:35]
	v_div_fixup_f64 v[6:7], v[6:7], v[126:127], 1.0
	v_fma_f64 v[20:21], -v[34:35], v[36:37], 1.0
	v_fmac_f64_e32 v[36:37], v[36:37], v[20:21]
	v_fma_f64 v[20:21], -v[34:35], v[36:37], 1.0
	v_fmac_f64_e32 v[36:37], v[36:37], v[20:21]
	v_div_scale_f64 v[20:21], vcc, v[8:9], v[100:101], v[8:9]
	v_mul_f64 v[38:39], v[20:21], v[36:37]
	v_fma_f64 v[20:21], -v[34:35], v[38:39], v[20:21]
	s_nop 1
	v_div_fmas_f64 v[20:21], v[20:21], v[36:37], v[38:39]
	v_div_fixup_f64 v[20:21], v[20:21], v[100:101], v[8:9]
	v_fma_f64 v[8:9], -2.0, v[22:23], v[80:81]
	v_add_f64 v[8:9], v[24:25], v[8:9]
	scratch_load_dwordx2 v[24:25], off, off offset:16 ; 8-byte Folded Reload
	s_waitcnt vmcnt(0)
	v_mul_f64 v[34:35], v[24:25], v[8:9]
	v_mul_f64 v[8:9], v[120:121], v[100:101]
	v_div_scale_f64 v[36:37], s[0:1], v[8:9], v[8:9], v[34:35]
	v_rcp_f64_e32 v[38:39], v[36:37]
	s_nop 0
	v_fma_f64 v[110:111], -v[36:37], v[38:39], 1.0
	v_fmac_f64_e32 v[38:39], v[38:39], v[110:111]
	v_fma_f64 v[110:111], -v[36:37], v[38:39], 1.0
	v_fmac_f64_e32 v[38:39], v[38:39], v[110:111]
	v_div_scale_f64 v[110:111], vcc, v[34:35], v[8:9], v[34:35]
	v_mul_f64 v[80:81], v[110:111], v[38:39]
	v_fma_f64 v[36:37], -v[36:37], v[80:81], v[110:111]
	s_nop 1
	v_div_fmas_f64 v[36:37], v[36:37], v[38:39], v[80:81]
	v_div_fixup_f64 v[34:35], v[36:37], v[8:9], v[34:35]
	v_add_f64 v[34:35], v[20:21], -v[34:35]
	v_add_f64 v[20:21], v[84:85], v[84:85]
	v_mul_f64 v[38:39], v[126:127], v[126:127]
	v_mul_f64 v[20:21], v[20:21], v[92:93]
	;; [unrolled: 1-line block ×3, first 2 shown]
	v_div_scale_f64 v[62:63], s[0:1], v[38:39], v[38:39], v[20:21]
	v_rcp_f64_e32 v[76:77], v[62:63]
	v_fmac_f64_e32 v[34:35], v[124:125], v[106:107]
	v_mul_f64 v[36:37], v[6:7], v[34:35]
	v_fma_f64 v[80:81], -v[62:63], v[76:77], 1.0
	v_fmac_f64_e32 v[76:77], v[76:77], v[80:81]
	v_fma_f64 v[80:81], -v[62:63], v[76:77], 1.0
	v_fmac_f64_e32 v[76:77], v[76:77], v[80:81]
	v_div_scale_f64 v[80:81], vcc, v[20:21], v[38:39], v[20:21]
	v_mul_f64 v[92:93], v[80:81], v[76:77]
	v_fma_f64 v[62:63], -v[62:63], v[92:93], v[80:81]
	s_nop 1
	v_div_fmas_f64 v[62:63], v[62:63], v[76:77], v[92:93]
	v_div_fixup_f64 v[38:39], v[62:63], v[38:39], v[20:21]
	v_mul_f64 v[20:21], v[78:79], v[0:1]
	v_mul_f64 v[20:21], v[20:21], v[16:17]
	;; [unrolled: 1-line block ×3, first 2 shown]
	v_div_scale_f64 v[62:63], s[0:1], v[56:57], v[56:57], v[20:21]
	v_rcp_f64_e32 v[76:77], v[62:63]
	s_nop 0
	v_fma_f64 v[80:81], -v[62:63], v[76:77], 1.0
	v_fmac_f64_e32 v[76:77], v[76:77], v[80:81]
	v_fma_f64 v[80:81], -v[62:63], v[76:77], 1.0
	v_fmac_f64_e32 v[76:77], v[76:77], v[80:81]
	v_div_scale_f64 v[80:81], vcc, v[20:21], v[56:57], v[20:21]
	v_mul_f64 v[92:93], v[80:81], v[76:77]
	v_fma_f64 v[62:63], -v[62:63], v[92:93], v[80:81]
	s_nop 1
	v_div_fmas_f64 v[62:63], v[62:63], v[76:77], v[92:93]
	v_div_fixup_f64 v[62:63], v[62:63], v[56:57], v[20:21]
	v_add_f64 v[20:21], v[86:87], v[86:87]
	v_mul_f64 v[20:21], v[58:59], v[20:21]
	v_mul_f64 v[58:59], v[60:61], v[60:61]
	;; [unrolled: 1-line block ×3, first 2 shown]
	v_div_scale_f64 v[58:59], s[0:1], v[44:45], v[44:45], v[20:21]
	v_rcp_f64_e32 v[60:61], v[58:59]
	s_nop 0
	v_fma_f64 v[76:77], -v[58:59], v[60:61], 1.0
	v_fmac_f64_e32 v[60:61], v[60:61], v[76:77]
	v_fma_f64 v[76:77], -v[58:59], v[60:61], 1.0
	v_fmac_f64_e32 v[60:61], v[60:61], v[76:77]
	v_div_scale_f64 v[76:77], vcc, v[20:21], v[44:45], v[20:21]
	v_mul_f64 v[80:81], v[76:77], v[60:61]
	v_fma_f64 v[58:59], -v[58:59], v[80:81], v[76:77]
	s_nop 1
	v_div_fmas_f64 v[58:59], v[58:59], v[60:61], v[80:81]
	v_div_fixup_f64 v[20:21], v[58:59], v[44:45], v[20:21]
	v_div_scale_f64 v[44:45], s[0:1], v[48:49], v[48:49], v[30:31]
	v_rcp_f64_e32 v[58:59], v[44:45]
	v_add_f64 v[20:21], -v[122:123], -v[20:21]
	v_mul_f64 v[20:21], v[108:109], v[20:21]
	v_fma_f64 v[60:61], -v[44:45], v[58:59], 1.0
	v_fmac_f64_e32 v[58:59], v[58:59], v[60:61]
	v_fma_f64 v[60:61], -v[44:45], v[58:59], 1.0
	v_fmac_f64_e32 v[58:59], v[58:59], v[60:61]
	v_div_scale_f64 v[60:61], vcc, v[30:31], v[48:49], v[30:31]
	v_mul_f64 v[76:77], v[60:61], v[58:59]
	v_fma_f64 v[44:45], -v[44:45], v[76:77], v[60:61]
	s_nop 1
	v_div_fmas_f64 v[44:45], v[44:45], v[58:59], v[76:77]
	v_div_fixup_f64 v[30:31], v[44:45], v[48:49], v[30:31]
	v_mul_f64 v[44:45], v[48:49], v[48:49]
	v_div_scale_f64 v[48:49], s[0:1], v[44:45], v[44:45], v[18:19]
	v_rcp_f64_e32 v[58:59], v[48:49]
	s_nop 0
	v_fma_f64 v[60:61], -v[48:49], v[58:59], 1.0
	v_fmac_f64_e32 v[58:59], v[58:59], v[60:61]
	v_fma_f64 v[60:61], -v[48:49], v[58:59], 1.0
	v_fmac_f64_e32 v[58:59], v[58:59], v[60:61]
	v_div_scale_f64 v[60:61], vcc, v[18:19], v[44:45], v[18:19]
	v_mul_f64 v[76:77], v[60:61], v[58:59]
	v_fma_f64 v[48:49], -v[48:49], v[76:77], v[60:61]
	s_nop 1
	v_div_fmas_f64 v[48:49], v[48:49], v[58:59], v[76:77]
	v_div_fixup_f64 v[18:19], v[48:49], v[44:45], v[18:19]
	v_add_f64 v[18:19], v[30:31], -v[18:19]
	v_mul_f64 v[30:31], v[54:55], v[42:43]
	v_div_scale_f64 v[44:45], s[0:1], v[30:31], v[30:31], v[10:11]
	v_rcp_f64_e32 v[48:49], v[44:45]
	s_nop 0
	v_fma_f64 v[58:59], -v[44:45], v[48:49], 1.0
	v_fmac_f64_e32 v[48:49], v[48:49], v[58:59]
	v_fma_f64 v[58:59], -v[44:45], v[48:49], 1.0
	v_fmac_f64_e32 v[48:49], v[48:49], v[58:59]
	v_div_scale_f64 v[58:59], vcc, v[10:11], v[30:31], v[10:11]
	v_mul_f64 v[60:61], v[58:59], v[48:49]
	v_fma_f64 v[44:45], -v[44:45], v[60:61], v[58:59]
	s_nop 1
	v_div_fmas_f64 v[44:45], v[44:45], v[48:49], v[60:61]
	v_div_fixup_f64 v[10:11], v[44:45], v[30:31], v[10:11]
	v_div_scale_f64 v[30:31], s[0:1], v[100:101], v[100:101], v[20:21]
	v_rcp_f64_e32 v[44:45], v[30:31]
	s_nop 0
	v_fma_f64 v[48:49], -v[30:31], v[44:45], 1.0
	v_fmac_f64_e32 v[44:45], v[44:45], v[48:49]
	v_fma_f64 v[48:49], -v[30:31], v[44:45], 1.0
	v_fmac_f64_e32 v[44:45], v[44:45], v[48:49]
	v_div_scale_f64 v[48:49], vcc, v[20:21], v[100:101], v[20:21]
	v_mul_f64 v[58:59], v[48:49], v[44:45]
	v_fma_f64 v[30:31], -v[30:31], v[58:59], v[48:49]
	s_nop 1
	v_div_fmas_f64 v[30:31], v[30:31], v[44:45], v[58:59]
	v_div_fixup_f64 v[20:21], v[30:31], v[100:101], v[20:21]
	v_add_f64 v[30:31], v[62:63], v[62:63]
	v_fmac_f64_e32 v[30:31], v[40:41], v[10:11]
	v_add_f64 v[10:11], v[18:19], v[30:31]
	v_mul_f64 v[10:11], v[24:25], v[10:11]
	v_div_scale_f64 v[18:19], s[0:1], v[8:9], v[8:9], v[10:11]
	v_rcp_f64_e32 v[30:31], v[18:19]
	v_add_f64 v[20:21], v[20:21], -v[106:107]
	s_mov_b32 s0, 0xe2308c3a
	s_mov_b32 s1, 0x3e45798e
	v_fma_f64 v[44:45], -v[18:19], v[30:31], 1.0
	v_fmac_f64_e32 v[30:31], v[30:31], v[44:45]
	v_fma_f64 v[44:45], -v[18:19], v[30:31], 1.0
	v_fmac_f64_e32 v[30:31], v[30:31], v[44:45]
	v_div_scale_f64 v[44:45], vcc, v[10:11], v[8:9], v[10:11]
	v_mul_f64 v[48:49], v[44:45], v[30:31]
	v_fma_f64 v[18:19], -v[18:19], v[48:49], v[44:45]
	s_nop 1
	v_div_fmas_f64 v[18:19], v[18:19], v[30:31], v[48:49]
	v_div_fixup_f64 v[8:9], v[18:19], v[8:9], v[10:11]
	v_add_f64 v[10:11], v[20:21], -v[8:9]
	v_mul_f64 v[8:9], v[38:39], v[34:35]
	v_fmac_f64_e32 v[8:9], v[6:7], v[10:11]
	v_cmp_ngt_f64_e64 s[0:1], |v[8:9]|, s[0:1]
                                        ; implicit-def: $vgpr10_vgpr11
	s_and_saveexec_b64 s[2:3], s[0:1]
	s_xor_b64 s[0:1], exec, s[2:3]
; %bb.58:
	v_mul_f64 v[10:11], s[12:13], v[36:37]
                                        ; implicit-def: $vgpr8_vgpr9
                                        ; implicit-def: $vgpr36_vgpr37
; %bb.59:
	s_andn2_saveexec_b64 s[2:3], s[0:1]
	s_cbranch_execz .LBB0_61
; %bb.60:
	s_mov_b32 s0, 0x652b82fe
	v_mul_f64 v[6:7], s[12:13], v[8:9]
	s_mov_b32 s1, 0x3ff71547
	v_mul_f64 v[10:11], v[6:7], s[0:1]
	s_mov_b32 s0, 0xfefa39ef
	v_rndne_f64_e32 v[10:11], v[10:11]
	s_mov_b32 s1, 0xbfe62e42
	v_fma_f64 v[18:19], s[0:1], v[10:11], v[6:7]
	s_mov_b32 s0, 0x3b39803f
	s_mov_b32 s1, 0xbc7abc9e
	v_fmac_f64_e32 v[18:19], s[0:1], v[10:11]
	s_mov_b32 s0, 0x6a5dcb37
	v_mov_b32_e32 v20, 0xfca7ab0c
	v_mov_b32_e32 v21, 0x3e928af3
	s_mov_b32 s1, 0x3e5ade15
	v_fmac_f64_e32 v[20:21], s[0:1], v[18:19]
	v_mov_b32_e32 v30, 0x623fde64
	v_mov_b32_e32 v31, 0x3ec71dee
	v_fmac_f64_e32 v[30:31], v[18:19], v[20:21]
	v_mov_b32_e32 v20, 0x7c89e6b0
	v_mov_b32_e32 v21, 0x3efa0199
	;; [unrolled: 3-line block ×8, first 2 shown]
	v_fmac_f64_e32 v[20:21], v[18:19], v[30:31]
	s_mov_b32 s0, 0
	v_fma_f64 v[20:21], v[18:19], v[20:21], 1.0
	s_mov_b32 s1, 0x40900000
	v_fma_f64 v[18:19], v[18:19], v[20:21], 1.0
	v_cvt_i32_f64_e32 v0, v[10:11]
	v_cmp_nlt_f64_e32 vcc, s[0:1], v[6:7]
	s_mov_b32 s0, 0
	v_ldexp_f64 v[10:11], v[18:19], v0
	s_mov_b32 s1, 0xc090cc00
	v_add_f64 v[10:11], v[10:11], -1.0
	v_mov_b32_e32 v0, 0x7ff00000
	v_cmp_ngt_f64_e64 s[0:1], s[0:1], v[6:7]
	v_cndmask_b32_e32 v0, v0, v11, vcc
	v_mov_b32_e32 v1, 0xbff00000
	s_and_b64 vcc, s[0:1], vcc
	v_cndmask_b32_e64 v7, v1, v0, s[0:1]
	v_cndmask_b32_e32 v6, 0, v10, vcc
	v_mul_f64 v[6:7], v[36:37], v[6:7]
	v_div_scale_f64 v[10:11], s[0:1], v[8:9], v[8:9], v[6:7]
	v_rcp_f64_e32 v[18:19], v[10:11]
	s_nop 0
	v_fma_f64 v[20:21], -v[10:11], v[18:19], 1.0
	v_fmac_f64_e32 v[18:19], v[18:19], v[20:21]
	v_fma_f64 v[20:21], -v[10:11], v[18:19], 1.0
	v_fmac_f64_e32 v[18:19], v[18:19], v[20:21]
	v_div_scale_f64 v[20:21], vcc, v[6:7], v[8:9], v[6:7]
	v_mul_f64 v[30:31], v[20:21], v[18:19]
	v_fma_f64 v[10:11], -v[10:11], v[30:31], v[20:21]
	s_nop 1
	v_div_fmas_f64 v[10:11], v[10:11], v[18:19], v[30:31]
	v_div_fixup_f64 v[10:11], v[10:11], v[8:9], v[6:7]
.LBB0_61:
	s_or_b64 exec, exec, s[2:3]
	scratch_load_dwordx2 v[0:1], off, off offset:344 ; 8-byte Folded Reload
	v_mul_f64 v[8:9], v[118:119], v[118:119]
	v_add_f64 v[10:11], v[54:55], v[10:11]
	s_waitcnt vmcnt(0)
	v_mul_f64 v[18:19], v[0:1], v[0:1]
	scratch_load_dwordx2 v[0:1], off, off offset:368 ; 8-byte Folded Reload
	scratch_load_dwordx2 v[24:25], off, off offset:376 ; 8-byte Folded Reload
	v_div_scale_f64 v[6:7], s[0:1], v[8:9], v[8:9], v[18:19]
	v_rcp_f64_e32 v[20:21], v[6:7]
	s_waitcnt vmcnt(0)
	v_add_f64 v[34:35], v[0:1], -v[24:25]
	v_fma_f64 v[30:31], -v[6:7], v[20:21], 1.0
	v_fmac_f64_e32 v[20:21], v[20:21], v[30:31]
	v_fma_f64 v[30:31], -v[6:7], v[20:21], 1.0
	v_fmac_f64_e32 v[20:21], v[20:21], v[30:31]
	v_div_scale_f64 v[30:31], vcc, v[18:19], v[8:9], v[18:19]
	v_mul_f64 v[36:37], v[30:31], v[20:21]
	v_fma_f64 v[6:7], -v[6:7], v[36:37], v[30:31]
	s_nop 1
	v_div_fmas_f64 v[6:7], v[6:7], v[20:21], v[36:37]
	v_div_fixup_f64 v[6:7], v[6:7], v[8:9], v[18:19]
	v_add_f64 v[36:37], v[6:7], 1.0
	v_div_scale_f64 v[6:7], s[0:1], v[36:37], v[36:37], v[34:35]
	v_rcp_f64_e32 v[20:21], v[6:7]
	s_mov_b32 s0, 0xe2308c3a
	s_mov_b32 s1, 0x3e45798e
	v_fma_f64 v[30:31], -v[6:7], v[20:21], 1.0
	v_fmac_f64_e32 v[20:21], v[20:21], v[30:31]
	v_fma_f64 v[30:31], -v[6:7], v[20:21], 1.0
	v_fmac_f64_e32 v[20:21], v[20:21], v[30:31]
	v_div_scale_f64 v[30:31], vcc, v[34:35], v[36:37], v[34:35]
	v_mul_f64 v[38:39], v[30:31], v[20:21]
	v_fma_f64 v[6:7], -v[6:7], v[38:39], v[30:31]
	v_mul_f64 v[30:31], v[116:117], v[72:73]
	s_nop 0
	v_div_fmas_f64 v[6:7], v[6:7], v[20:21], v[38:39]
	v_div_fixup_f64 v[6:7], v[6:7], v[36:37], v[34:35]
	v_add_f64 v[6:7], v[0:1], -v[6:7]
	scratch_load_dwordx2 v[0:1], off, off offset:320 ; 8-byte Folded Reload
	v_add_f64 v[20:21], -v[116:117], 1.0
                                        ; implicit-def: $vgpr38_vgpr39
	s_waitcnt vmcnt(0)
	global_store_dwordx2 v[0:1], v[10:11], off
	scratch_load_dwordx2 v[0:1], off, off offset:352 ; 8-byte Folded Reload
	s_waitcnt vmcnt(0)
	v_mul_f64 v[10:11], v[0:1], v[6:7]
	scratch_load_dwordx2 v[0:1], off, off offset:360 ; 8-byte Folded Reload
	v_mul_f64 v[30:31], v[30:31], v[10:11]
	s_waitcnt vmcnt(0)
	v_fma_f64 v[10:11], -v[72:73], v[10:11], -v[0:1]
	v_fma_f64 v[20:21], v[20:21], v[0:1], -v[30:31]
	v_cmp_ngt_f64_e64 s[0:1], |v[10:11]|, s[0:1]
	s_and_saveexec_b64 s[2:3], s[0:1]
	s_xor_b64 s[0:1], exec, s[2:3]
; %bb.62:
	v_mul_f64 v[38:39], s[12:13], v[20:21]
                                        ; implicit-def: $vgpr10_vgpr11
                                        ; implicit-def: $vgpr20_vgpr21
; %bb.63:
	s_or_saveexec_b64 s[2:3], s[0:1]
	v_mul_f64 v[30:31], v[14:15], v[122:123]
	s_xor_b64 exec, exec, s[2:3]
	s_cbranch_execz .LBB0_65
; %bb.64:
	s_mov_b32 s0, 0x652b82fe
	v_mul_f64 v[14:15], s[12:13], v[10:11]
	s_mov_b32 s1, 0x3ff71547
	v_mul_f64 v[38:39], v[14:15], s[0:1]
	s_mov_b32 s0, 0xfefa39ef
	v_rndne_f64_e32 v[38:39], v[38:39]
	s_mov_b32 s1, 0xbfe62e42
	v_fma_f64 v[44:45], s[0:1], v[38:39], v[14:15]
	s_mov_b32 s0, 0x3b39803f
	s_mov_b32 s1, 0xbc7abc9e
	v_fmac_f64_e32 v[44:45], s[0:1], v[38:39]
	s_mov_b32 s0, 0x6a5dcb37
	v_mov_b32_e32 v48, 0xfca7ab0c
	v_mov_b32_e32 v49, 0x3e928af3
	s_mov_b32 s1, 0x3e5ade15
	v_fmac_f64_e32 v[48:49], s[0:1], v[44:45]
	v_mov_b32_e32 v58, 0x623fde64
	v_mov_b32_e32 v59, 0x3ec71dee
	v_fmac_f64_e32 v[58:59], v[44:45], v[48:49]
	v_mov_b32_e32 v48, 0x7c89e6b0
	v_mov_b32_e32 v49, 0x3efa0199
	;; [unrolled: 3-line block ×8, first 2 shown]
	v_fmac_f64_e32 v[48:49], v[44:45], v[58:59]
	s_mov_b32 s0, 0
	v_fma_f64 v[48:49], v[44:45], v[48:49], 1.0
	s_mov_b32 s1, 0x40900000
	v_fma_f64 v[44:45], v[44:45], v[48:49], 1.0
	v_cvt_i32_f64_e32 v0, v[38:39]
	v_cmp_nlt_f64_e32 vcc, s[0:1], v[14:15]
	s_mov_b32 s0, 0
	v_ldexp_f64 v[38:39], v[44:45], v0
	s_mov_b32 s1, 0xc090cc00
	v_add_f64 v[38:39], v[38:39], -1.0
	v_mov_b32_e32 v0, 0x7ff00000
	v_cmp_ngt_f64_e64 s[0:1], s[0:1], v[14:15]
	v_cndmask_b32_e32 v0, v0, v39, vcc
	v_mov_b32_e32 v1, 0xbff00000
	s_and_b64 vcc, s[0:1], vcc
	v_cndmask_b32_e64 v15, v1, v0, s[0:1]
	v_cndmask_b32_e32 v14, 0, v38, vcc
	v_mul_f64 v[14:15], v[20:21], v[14:15]
	v_div_scale_f64 v[20:21], s[0:1], v[10:11], v[10:11], v[14:15]
	v_rcp_f64_e32 v[38:39], v[20:21]
	s_nop 0
	v_fma_f64 v[44:45], -v[20:21], v[38:39], 1.0
	v_fmac_f64_e32 v[38:39], v[38:39], v[44:45]
	v_fma_f64 v[44:45], -v[20:21], v[38:39], 1.0
	v_fmac_f64_e32 v[38:39], v[38:39], v[44:45]
	v_div_scale_f64 v[44:45], vcc, v[14:15], v[10:11], v[14:15]
	v_mul_f64 v[48:49], v[44:45], v[38:39]
	v_fma_f64 v[20:21], -v[20:21], v[48:49], v[44:45]
	s_nop 1
	v_div_fmas_f64 v[20:21], v[20:21], v[38:39], v[48:49]
	v_div_fixup_f64 v[38:39], v[20:21], v[10:11], v[14:15]
.LBB0_65:
	s_or_b64 exec, exec, s[2:3]
	scratch_load_dwordx2 v[40:41], off, off offset:336 ; 8-byte Folded Reload
	scratch_load_dwordx2 v[0:1], off, off offset:312 ; 8-byte Folded Reload
	;; [unrolled: 1-line block ×3, first 2 shown]
	v_div_scale_f64 v[10:11], s[0:1], v[6:7], v[6:7], v[32:33]
	v_rcp_f64_e32 v[14:15], v[10:11]
	v_mul_f64 v[18:19], v[18:19], -2.0
	v_mul_f64 v[18:19], v[18:19], v[34:35]
	v_mul_f64 v[34:35], v[36:37], v[36:37]
	v_fma_f64 v[20:21], -v[10:11], v[14:15], 1.0
	v_fmac_f64_e32 v[14:15], v[14:15], v[20:21]
	v_fma_f64 v[20:21], -v[10:11], v[14:15], 1.0
	v_fmac_f64_e32 v[14:15], v[14:15], v[20:21]
	v_div_scale_f64 v[20:21], vcc, v[32:33], v[6:7], v[32:33]
	v_mul_f64 v[44:45], v[20:21], v[14:15]
	v_fma_f64 v[10:11], -v[10:11], v[44:45], v[20:21]
	v_mul_f64 v[8:9], v[118:119], v[8:9]
	s_nop 0
	v_div_fmas_f64 v[10:11], v[10:11], v[14:15], v[44:45]
	v_div_fixup_f64 v[126:127], v[10:11], v[6:7], v[32:33]
	v_mul_f64 v[44:45], v[116:117], v[26:27]
	v_mul_f64 v[10:11], v[44:45], v[126:127]
	v_fmac_f64_e32 v[112:113], v[26:27], v[126:127]
	v_div_scale_f64 v[14:15], s[0:1], v[112:113], v[112:113], v[10:11]
	v_rcp_f64_e32 v[20:21], v[14:15]
	v_mul_f64 v[8:9], v[8:9], v[34:35]
	v_div_scale_f64 v[34:35], s[0:1], v[8:9], v[8:9], v[18:19]
	v_fma_f64 v[48:49], -v[14:15], v[20:21], 1.0
	v_fmac_f64_e32 v[20:21], v[20:21], v[48:49]
	v_fma_f64 v[48:49], -v[14:15], v[20:21], 1.0
	v_fmac_f64_e32 v[20:21], v[20:21], v[48:49]
	v_div_scale_f64 v[48:49], vcc, v[10:11], v[112:113], v[10:11]
	v_mul_f64 v[58:59], v[48:49], v[20:21]
	v_fma_f64 v[14:15], -v[14:15], v[58:59], v[48:49]
	v_add_f64 v[48:49], v[118:119], v[74:75]
	s_nop 0
	v_div_fmas_f64 v[14:15], v[14:15], v[20:21], v[58:59]
	v_div_fixup_f64 v[14:15], v[14:15], v[112:113], v[10:11]
	v_mul_f64 v[58:59], v[48:49], v[48:49]
	v_rcp_f64_e32 v[36:37], v[34:35]
	v_mul_f64 v[6:7], v[6:7], v[6:7]
	s_mov_b32 s2, 0x4222de17
	s_mov_b32 s3, 0x3fbdee67
	;; [unrolled: 1-line block ×3, first 2 shown]
	s_movk_i32 s6, 0x204
	s_waitcnt vmcnt(2)
	v_mul_f64 v[10:11], v[40:41], v[74:75]
	v_div_scale_f64 v[20:21], s[0:1], v[58:59], v[58:59], v[10:11]
	v_rcp_f64_e32 v[60:61], v[20:21]
	s_nop 0
	v_fma_f64 v[62:63], -v[20:21], v[60:61], 1.0
	v_fmac_f64_e32 v[60:61], v[60:61], v[62:63]
	v_fma_f64 v[62:63], -v[20:21], v[60:61], 1.0
	v_fmac_f64_e32 v[60:61], v[60:61], v[62:63]
	v_div_scale_f64 v[62:63], vcc, v[10:11], v[58:59], v[10:11]
	v_mul_f64 v[76:77], v[62:63], v[60:61]
	v_fma_f64 v[20:21], -v[20:21], v[76:77], v[62:63]
	s_nop 1
	v_div_fmas_f64 v[20:21], v[20:21], v[60:61], v[76:77]
	v_div_fixup_f64 v[10:11], v[20:21], v[58:59], v[10:11]
	v_add_f64 v[60:61], v[10:11], 1.0
	v_div_scale_f64 v[10:11], s[0:1], v[60:61], v[60:61], 1.0
	v_rcp_f64_e32 v[20:21], v[10:11]
	s_nop 0
	v_fma_f64 v[62:63], -v[10:11], v[20:21], 1.0
	v_fmac_f64_e32 v[20:21], v[20:21], v[62:63]
	v_fma_f64 v[62:63], -v[10:11], v[20:21], 1.0
	v_fmac_f64_e32 v[20:21], v[20:21], v[62:63]
	v_div_scale_f64 v[62:63], vcc, 1.0, v[60:61], 1.0
	v_mul_f64 v[76:77], v[62:63], v[20:21]
	v_fma_f64 v[10:11], -v[10:11], v[76:77], v[62:63]
	s_nop 1
	v_div_fmas_f64 v[10:11], v[10:11], v[20:21], v[76:77]
	v_div_fixup_f64 v[20:21], v[10:11], v[60:61], 1.0
	v_add_f64 v[10:11], v[116:117], v[38:39]
	v_fma_f64 v[38:39], -v[34:35], v[36:37], 1.0
	v_fmac_f64_e32 v[36:37], v[36:37], v[38:39]
	v_fma_f64 v[38:39], -v[34:35], v[36:37], 1.0
	v_fmac_f64_e32 v[36:37], v[36:37], v[38:39]
	v_div_scale_f64 v[38:39], vcc, v[18:19], v[8:9], v[18:19]
	v_mul_f64 v[62:63], v[38:39], v[36:37]
	v_fma_f64 v[34:35], -v[34:35], v[62:63], v[38:39]
	s_waitcnt vmcnt(1)
	global_store_dwordx2 v[0:1], v[10:11], off
	v_div_fmas_f64 v[34:35], v[34:35], v[36:37], v[62:63]
	v_div_fixup_f64 v[36:37], v[34:35], v[8:9], v[18:19]
	v_add_f64 v[8:9], v[40:41], v[40:41]
	v_mul_f64 v[18:19], v[60:61], v[60:61]
	v_mul_f64 v[34:35], v[48:49], v[58:59]
	;; [unrolled: 1-line block ×4, first 2 shown]
	v_div_scale_f64 v[34:35], s[0:1], v[18:19], v[18:19], v[8:9]
	v_rcp_f64_e32 v[38:39], v[34:35]
	v_mov_b32_e32 v0, 0x40100000
	v_add_f64 v[10:11], v[118:119], -v[72:73]
	s_waitcnt vmcnt(1)
	v_mul_f64 v[10:11], v[10:11], v[24:25]
	v_fma_f64 v[48:49], -v[34:35], v[38:39], 1.0
	v_fmac_f64_e32 v[38:39], v[38:39], v[48:49]
	v_fma_f64 v[48:49], -v[34:35], v[38:39], 1.0
	v_fmac_f64_e32 v[38:39], v[38:39], v[48:49]
	v_div_scale_f64 v[48:49], vcc, v[8:9], v[18:19], v[8:9]
	v_mul_f64 v[58:59], v[48:49], v[38:39]
	v_fma_f64 v[34:35], -v[34:35], v[58:59], v[48:49]
	v_fma_f64 v[30:31], -v[10:11], v[14:15], -v[30:31]
	s_nop 0
	v_div_fmas_f64 v[34:35], v[34:35], v[38:39], v[58:59]
	v_div_fixup_f64 v[38:39], v[34:35], v[18:19], v[8:9]
	v_div_scale_f64 v[8:9], s[0:1], v[6:7], v[6:7], -v[32:33]
	v_rcp_f64_e32 v[18:19], v[8:9]
	v_add_f64 v[30:31], v[2:3], v[30:31]
	v_mul_f64 v[2:3], v[20:21], v[30:31]
	v_fma_f64 v[34:35], -v[8:9], v[18:19], 1.0
	v_fmac_f64_e32 v[18:19], v[18:19], v[34:35]
	v_fma_f64 v[34:35], -v[8:9], v[18:19], 1.0
	v_fmac_f64_e32 v[18:19], v[18:19], v[34:35]
	v_div_scale_f64 v[34:35], vcc, -v[32:33], v[6:7], -v[32:33]
	v_mul_f64 v[48:49], v[34:35], v[18:19]
	v_fma_f64 v[8:9], -v[8:9], v[48:49], v[34:35]
	s_nop 1
	v_div_fmas_f64 v[8:9], v[8:9], v[18:19], v[48:49]
	v_div_fixup_f64 v[32:33], v[8:9], v[6:7], -v[32:33]
	v_div_scale_f64 v[6:7], s[0:1], v[112:113], v[112:113], v[44:45]
	v_rcp_f64_e32 v[8:9], v[6:7]
	s_mov_b32 s1, 0x3fe55555
	s_mov_b32 s0, 0x55555555
	v_fma_f64 v[18:19], -v[6:7], v[8:9], 1.0
	v_fmac_f64_e32 v[8:9], v[8:9], v[18:19]
	v_fma_f64 v[18:19], -v[6:7], v[8:9], 1.0
	v_fmac_f64_e32 v[8:9], v[8:9], v[18:19]
	v_div_scale_f64 v[18:19], vcc, v[44:45], v[112:113], v[44:45]
	v_mul_f64 v[34:35], v[18:19], v[8:9]
	v_fma_f64 v[6:7], -v[6:7], v[34:35], v[18:19]
	v_frexp_mant_f64_e64 v[18:19], |v[72:73]|
	s_nop 0
	v_div_fmas_f64 v[6:7], v[6:7], v[8:9], v[34:35]
	v_cmp_eq_f64_e32 vcc, 1.0, v[72:73]
	v_mov_b32_e32 v8, 0x3ff00000
	v_div_fixup_f64 v[60:61], v[6:7], v[112:113], v[44:45]
	v_cndmask_b32_e32 v7, v0, v8, vcc
	v_cmp_gt_f64_e32 vcc, s[0:1], v[18:19]
	v_frexp_exp_i32_f64_e32 v0, v[72:73]
	v_mov_b32_e32 v6, 0
	v_cndmask_b32_e64 v1, 0, 1, vcc
	v_ldexp_f64 v[18:19], v[18:19], v1
	v_add_f64 v[44:45], v[18:19], 1.0
	v_add_f64 v[48:49], v[44:45], -1.0
	v_add_f64 v[34:35], v[18:19], -1.0
	v_add_f64 v[18:19], v[18:19], -v[48:49]
	v_rcp_f64_e32 v[48:49], v[44:45]
	v_subbrev_co_u32_e32 v0, vcc, 0, v0, vcc
	v_fma_f64 v[58:59], -v[44:45], v[48:49], 1.0
	v_fmac_f64_e32 v[48:49], v[58:59], v[48:49]
	v_fma_f64 v[58:59], -v[44:45], v[48:49], 1.0
	v_fmac_f64_e32 v[48:49], v[58:59], v[48:49]
	v_mul_f64 v[58:59], v[34:35], v[48:49]
	v_mul_f64 v[62:63], v[44:45], v[58:59]
	v_fma_f64 v[44:45], v[58:59], v[44:45], -v[62:63]
	v_fmac_f64_e32 v[44:45], v[58:59], v[18:19]
	v_add_f64 v[18:19], v[62:63], v[44:45]
	v_add_f64 v[74:75], v[34:35], -v[18:19]
	v_add_f64 v[62:63], v[18:19], -v[62:63]
	;; [unrolled: 1-line block ×5, first 2 shown]
	v_add_f64 v[18:19], v[34:35], v[18:19]
	v_add_f64 v[18:19], v[74:75], v[18:19]
	v_mul_f64 v[18:19], v[48:49], v[18:19]
	v_add_f64 v[34:35], v[58:59], v[18:19]
	v_add_f64 v[44:45], v[34:35], -v[58:59]
	v_add_f64 v[18:19], v[18:19], -v[44:45]
	v_mul_f64 v[44:45], v[34:35], v[34:35]
	v_fma_f64 v[48:49], v[34:35], v[34:35], -v[44:45]
	v_add_f64 v[58:59], v[18:19], v[18:19]
	v_fmac_f64_e32 v[48:49], v[34:35], v[58:59]
	v_add_f64 v[58:59], v[44:45], v[48:49]
	v_add_f64 v[44:45], v[58:59], -v[44:45]
	v_add_f64 v[44:45], v[48:49], -v[44:45]
	v_mov_b32_e32 v48, 0x968915a9
	v_mov_b32_e32 v49, 0x3fba6564
	v_fmac_f64_e32 v[48:49], s[2:3], v[58:59]
	v_mov_b32_e32 v62, 0x3abe935a
	v_mov_b32_e32 v63, 0x3fbe25e4
	v_fmac_f64_e32 v[62:63], v[58:59], v[48:49]
	;; [unrolled: 3-line block ×8, first 2 shown]
	v_cvt_f64_i32_e32 v[48:49], v0
	s_mov_b32 s3, 0x3fe62e42
	s_mov_b32 s2, 0xfefa39ef
	v_mul_f64 v[74:75], v[48:49], s[2:3]
	v_mul_f64 v[86:87], v[34:35], v[58:59]
	v_fma_f64 v[76:77], v[48:49], s[2:3], -v[74:75]
	v_fma_f64 v[92:93], v[58:59], v[34:35], -v[86:87]
	v_fmac_f64_e32 v[76:77], s[4:5], v[48:49]
	v_fmac_f64_e32 v[92:93], v[58:59], v[18:19]
	v_add_f64 v[48:49], v[74:75], v[76:77]
	v_fmac_f64_e32 v[92:93], v[44:45], v[34:35]
	v_add_f64 v[74:75], v[48:49], -v[74:75]
	v_ldexp_f64 v[80:81], v[18:19], 1
	v_add_f64 v[18:19], v[86:87], v[92:93]
	v_add_f64 v[74:75], v[76:77], -v[74:75]
	v_ldexp_f64 v[76:77], v[34:35], 1
	v_add_f64 v[34:35], v[18:19], -v[86:87]
	v_mul_f64 v[86:87], v[58:59], v[62:63]
	v_fma_f64 v[58:59], v[58:59], v[62:63], -v[86:87]
	v_fmac_f64_e32 v[58:59], v[44:45], v[62:63]
	v_add_f64 v[44:45], v[86:87], v[58:59]
	v_add_f64 v[62:63], v[44:45], -v[86:87]
	v_add_f64 v[58:59], v[58:59], -v[62:63]
	v_add_f64 v[62:63], v[44:45], s[0:1]
	s_mov_b32 s1, 0xbfe55555
	v_add_f64 v[86:87], v[62:63], s[0:1]
	s_mov_b32 s0, 0xd5df274d
	s_mov_b32 s1, 0x3c8543b0
	v_add_f64 v[44:45], v[44:45], -v[86:87]
	v_add_f64 v[58:59], v[58:59], s[0:1]
	v_add_f64 v[44:45], v[58:59], v[44:45]
	;; [unrolled: 1-line block ×3, first 2 shown]
	v_add_f64 v[62:63], v[62:63], -v[58:59]
	v_add_f64 v[44:45], v[44:45], v[62:63]
	v_mul_f64 v[62:63], v[18:19], v[58:59]
	v_fma_f64 v[86:87], v[18:19], v[58:59], -v[62:63]
	v_add_f64 v[34:35], v[92:93], -v[34:35]
	v_fmac_f64_e32 v[86:87], v[18:19], v[44:45]
	v_fmac_f64_e32 v[86:87], v[34:35], v[58:59]
	v_add_f64 v[18:19], v[62:63], v[86:87]
	v_add_f64 v[34:35], v[18:19], -v[62:63]
	v_add_f64 v[44:45], v[76:77], v[18:19]
	v_add_f64 v[34:35], v[86:87], -v[34:35]
	v_add_f64 v[58:59], v[44:45], -v[76:77]
	;; [unrolled: 1-line block ×3, first 2 shown]
	v_add_f64 v[34:35], v[80:81], v[34:35]
	v_add_f64 v[18:19], v[34:35], v[18:19]
	v_add_f64 v[34:35], v[44:45], v[18:19]
	v_add_f64 v[44:45], v[34:35], -v[44:45]
	v_add_f64 v[18:19], v[18:19], -v[44:45]
	v_add_f64 v[44:45], v[48:49], v[34:35]
	v_add_f64 v[58:59], v[44:45], -v[48:49]
	v_add_f64 v[62:63], v[44:45], -v[58:59]
	;; [unrolled: 1-line block ×4, first 2 shown]
	v_add_f64 v[34:35], v[34:35], v[48:49]
	v_add_f64 v[48:49], v[74:75], v[18:19]
	v_add_f64 v[58:59], v[48:49], -v[74:75]
	v_add_f64 v[34:35], v[48:49], v[34:35]
	v_add_f64 v[62:63], v[48:49], -v[58:59]
	;; [unrolled: 2-line block ×3, first 2 shown]
	v_add_f64 v[18:19], v[18:19], -v[58:59]
	v_add_f64 v[44:45], v[48:49], -v[44:45]
	v_add_f64 v[18:19], v[18:19], v[62:63]
	v_add_f64 v[34:35], v[34:35], -v[44:45]
	v_add_f64 v[18:19], v[18:19], v[34:35]
	v_add_f64 v[34:35], v[48:49], v[18:19]
	v_add_f64 v[44:45], v[34:35], -v[48:49]
	v_add_f64 v[18:19], v[18:19], -v[44:45]
	v_mul_f64 v[44:45], v[6:7], v[34:35]
	v_fma_f64 v[34:35], v[6:7], v[34:35], -v[44:45]
	v_fmac_f64_e32 v[34:35], v[6:7], v[18:19]
	v_add_f64 v[18:19], v[44:45], v[34:35]
	v_cmp_class_f64_e64 vcc, v[44:45], s6
	s_mov_b32 s0, 0
	v_add_f64 v[48:49], v[18:19], -v[44:45]
	v_cndmask_b32_e32 v19, v19, v45, vcc
	v_cndmask_b32_e32 v18, v18, v44, vcc
	s_mov_b32 s1, 0x7ff00000
	v_cmp_neq_f64_e64 vcc, |v[18:19]|, s[0:1]
	s_mov_b32 s0, 0x652b82fe
	s_mov_b32 s1, 0x3ff71547
	v_mul_f64 v[44:45], v[18:19], s[0:1]
	v_rndne_f64_e32 v[44:45], v[44:45]
	s_mov_b32 s3, 0xbfe62e42
	v_add_f64 v[34:35], v[34:35], -v[48:49]
	v_fma_f64 v[48:49], s[2:3], v[44:45], v[18:19]
	s_mov_b32 s5, 0xbc7abc9e
	s_mov_b32 s0, 0x6a5dcb37
	v_fmac_f64_e32 v[48:49], s[4:5], v[44:45]
	v_mov_b32_e32 v58, 0xfca7ab0c
	v_mov_b32_e32 v59, 0x3e928af3
	s_mov_b32 s1, 0x3e5ade15
	v_fmac_f64_e32 v[58:59], s[0:1], v[48:49]
	v_mov_b32_e32 v62, 0x623fde64
	v_mov_b32_e32 v63, 0x3ec71dee
	v_fmac_f64_e32 v[62:63], v[48:49], v[58:59]
	v_mov_b32_e32 v58, 0x7c89e6b0
	v_mov_b32_e32 v59, 0x3efa0199
	;; [unrolled: 3-line block ×8, first 2 shown]
	s_mov_b32 s0, 0
	v_fmac_f64_e32 v[58:59], v[48:49], v[62:63]
	s_mov_b32 s1, 0x40900000
	v_cndmask_b32_e32 v35, 0, v35, vcc
	v_cndmask_b32_e32 v34, 0, v34, vcc
	v_fma_f64 v[58:59], v[48:49], v[58:59], 1.0
	v_cmp_nlt_f64_e32 vcc, s[0:1], v[18:19]
	s_mov_b32 s0, 0
	v_fma_f64 v[48:49], v[48:49], v[58:59], 1.0
	v_cvt_i32_f64_e32 v0, v[44:45]
	s_mov_b32 s1, 0xc090cc00
	v_ldexp_f64 v[44:45], v[48:49], v0
	v_mov_b32_e32 v0, 0x7ff00000
	v_cmp_ngt_f64_e64 s[0:1], s[0:1], v[18:19]
	v_cndmask_b32_e32 v1, v0, v45, vcc
	s_and_b64 vcc, s[0:1], vcc
	v_cndmask_b32_e32 v18, 0, v44, vcc
	v_cndmask_b32_e64 v19, 0, v1, s[0:1]
	v_mov_b64_e32 v[44:45], v[18:19]
	v_cmp_class_f64_e64 vcc, v[18:19], s6
	v_fmac_f64_e32 v[44:45], v[44:45], v[34:35]
	s_brev_b32 s4, -2
	v_cndmask_b32_e32 v1, v44, v18, vcc
	v_cndmask_b32_e32 v9, v45, v19, vcc
	v_trunc_f64_e32 v[18:19], v[6:7]
	v_cmp_eq_f64_e32 vcc, v[18:19], v[6:7]
	v_mul_f64 v[6:7], v[6:7], 0.5
	v_trunc_f64_e32 v[18:19], v[6:7]
	v_cmp_neq_f64_e64 s[0:1], v[18:19], v[6:7]
	s_and_b64 s[0:1], vcc, s[0:1]
	v_mov_b32_e32 v7, 0x7ff80000
	v_cndmask_b32_e64 v6, v8, v73, s[0:1]
	v_bfi_b32 v6, s4, v9, v6
	v_cmp_gt_f64_e64 s[2:3], 0, v[72:73]
	v_cndmask_b32_e32 v8, v7, v6, vcc
	v_cndmask_b32_e32 v9, 0, v1, vcc
	v_cmp_eq_f64_e32 vcc, 0, v[72:73]
	v_cndmask_b32_e64 v1, v1, v9, s[2:3]
	v_cndmask_b32_e64 v6, v6, v8, s[2:3]
	v_cmp_class_f64_e64 s[2:3], v[72:73], s6
	v_cndmask_b32_e64 v0, v0, 0, vcc
	v_cndmask_b32_e64 v8, 0, v73, s[0:1]
	s_or_b64 s[2:3], vcc, s[2:3]
	v_bfi_b32 v0, s4, v0, v8
	v_cndmask_b32_e64 v0, v6, v0, s[2:3]
	v_cndmask_b32_e64 v1, v1, 0, s[2:3]
	v_cmp_o_f64_e32 vcc, v[72:73], v[72:73]
	v_mul_f64 v[58:59], v[112:113], v[112:113]
	s_nop 0
	v_cndmask_b32_e32 v6, 0, v1, vcc
	v_cndmask_b32_e32 v7, v7, v0, vcc
	v_mul_f64 v[6:7], v[116:117], v[6:7]
	v_mul_f64 v[6:7], v[126:127], v[6:7]
	v_div_scale_f64 v[8:9], s[0:1], v[58:59], v[58:59], v[6:7]
	v_rcp_f64_e32 v[18:19], v[8:9]
	s_mov_b32 s0, 0xe2308c3a
	s_mov_b32 s1, 0x3e45798e
	v_fma_f64 v[34:35], -v[8:9], v[18:19], 1.0
	v_fmac_f64_e32 v[18:19], v[18:19], v[34:35]
	v_fma_f64 v[34:35], -v[8:9], v[18:19], 1.0
	v_fmac_f64_e32 v[18:19], v[18:19], v[34:35]
	v_div_scale_f64 v[34:35], vcc, v[6:7], v[58:59], v[6:7]
	v_mul_f64 v[44:45], v[34:35], v[18:19]
	v_fma_f64 v[8:9], -v[8:9], v[44:45], v[34:35]
	s_nop 1
	v_div_fmas_f64 v[8:9], v[8:9], v[18:19], v[44:45]
	v_div_fixup_f64 v[6:7], v[8:9], v[58:59], v[6:7]
	v_add_f64 v[6:7], v[60:61], -v[6:7]
	v_mul_f64 v[6:7], v[10:11], v[6:7]
	v_mul_f64 v[60:61], v[24:25], v[14:15]
	;; [unrolled: 1-line block ×3, first 2 shown]
	v_fma_f64 v[8:9], v[36:37], v[6:7], v[60:61]
	v_add_f64 v[8:9], -v[122:123], -v[8:9]
	v_fma_f64 v[6:7], -v[36:37], v[6:7], v[8:9]
	v_mul_f64 v[18:19], v[20:21], v[6:7]
	v_fmac_f64_e32 v[18:19], v[38:39], v[30:31]
	v_cmp_ngt_f64_e64 s[0:1], |v[18:19]|, s[0:1]
                                        ; implicit-def: $vgpr36_vgpr37
	s_and_saveexec_b64 s[2:3], s[0:1]
	s_xor_b64 s[0:1], exec, s[2:3]
; %bb.66:
	v_mul_f64 v[36:37], s[12:13], v[2:3]
                                        ; implicit-def: $vgpr18_vgpr19
                                        ; implicit-def: $vgpr2_vgpr3
; %bb.67:
	s_or_saveexec_b64 s[2:3], s[0:1]
	v_mul_f64 v[6:7], v[124:125], v[106:107]
	v_mul_f64 v[8:9], v[10:11], v[14:15]
	s_xor_b64 exec, exec, s[2:3]
	s_cbranch_execz .LBB0_69
; %bb.68:
	s_mov_b32 s0, 0x652b82fe
	v_mul_f64 v[14:15], s[12:13], v[18:19]
	s_mov_b32 s1, 0x3ff71547
	v_mul_f64 v[20:21], v[14:15], s[0:1]
	s_mov_b32 s0, 0xfefa39ef
	v_rndne_f64_e32 v[20:21], v[20:21]
	s_mov_b32 s1, 0xbfe62e42
	v_fma_f64 v[30:31], s[0:1], v[20:21], v[14:15]
	s_mov_b32 s0, 0x3b39803f
	s_mov_b32 s1, 0xbc7abc9e
	v_fmac_f64_e32 v[30:31], s[0:1], v[20:21]
	s_mov_b32 s0, 0x6a5dcb37
	v_mov_b32_e32 v32, 0xfca7ab0c
	v_mov_b32_e32 v33, 0x3e928af3
	s_mov_b32 s1, 0x3e5ade15
	v_fmac_f64_e32 v[32:33], s[0:1], v[30:31]
	v_mov_b32_e32 v34, 0x623fde64
	v_mov_b32_e32 v35, 0x3ec71dee
	v_fmac_f64_e32 v[34:35], v[30:31], v[32:33]
	v_mov_b32_e32 v32, 0x7c89e6b0
	v_mov_b32_e32 v33, 0x3efa0199
	;; [unrolled: 3-line block ×8, first 2 shown]
	v_fmac_f64_e32 v[32:33], v[30:31], v[34:35]
	s_mov_b32 s0, 0
	v_fma_f64 v[32:33], v[30:31], v[32:33], 1.0
	s_mov_b32 s1, 0x40900000
	v_fma_f64 v[30:31], v[30:31], v[32:33], 1.0
	v_cvt_i32_f64_e32 v0, v[20:21]
	v_cmp_nlt_f64_e32 vcc, s[0:1], v[14:15]
	s_mov_b32 s0, 0
	v_ldexp_f64 v[20:21], v[30:31], v0
	s_mov_b32 s1, 0xc090cc00
	v_add_f64 v[20:21], v[20:21], -1.0
	v_mov_b32_e32 v0, 0x7ff00000
	v_cmp_ngt_f64_e64 s[0:1], s[0:1], v[14:15]
	v_cndmask_b32_e32 v0, v0, v21, vcc
	v_mov_b32_e32 v1, 0xbff00000
	s_and_b64 vcc, s[0:1], vcc
	v_cndmask_b32_e64 v15, v1, v0, s[0:1]
	v_cndmask_b32_e32 v14, 0, v20, vcc
	v_mul_f64 v[2:3], v[2:3], v[14:15]
	v_div_scale_f64 v[14:15], s[0:1], v[18:19], v[18:19], v[2:3]
	v_rcp_f64_e32 v[20:21], v[14:15]
	s_nop 0
	v_fma_f64 v[30:31], -v[14:15], v[20:21], 1.0
	v_fmac_f64_e32 v[20:21], v[20:21], v[30:31]
	v_fma_f64 v[30:31], -v[14:15], v[20:21], 1.0
	v_fmac_f64_e32 v[20:21], v[20:21], v[30:31]
	v_div_scale_f64 v[30:31], vcc, v[2:3], v[18:19], v[2:3]
	v_mul_f64 v[32:33], v[30:31], v[20:21]
	v_fma_f64 v[14:15], -v[14:15], v[32:33], v[30:31]
	s_nop 1
	v_div_fmas_f64 v[14:15], v[14:15], v[20:21], v[32:33]
	v_div_fixup_f64 v[36:37], v[14:15], v[18:19], v[2:3]
.LBB0_69:
	s_or_b64 exec, exec, s[2:3]
	scratch_load_dwordx2 v[40:41], off, off offset:296 ; 8-byte Folded Reload
	scratch_load_dwordx2 v[78:79], off, off offset:304 ; 8-byte Folded Reload
	;; [unrolled: 1-line block ×3, first 2 shown]
	v_mov_b32_e32 v0, 0x3f847ae1
	v_add_f64 v[36:37], v[118:119], v[36:37]
	v_ldexp_f64 v[74:75], v[72:73], -2
	v_mul_f64 v[8:9], v[108:109], v[8:9]
	v_mul_f64 v[6:7], v[6:7], v[100:101]
	;; [unrolled: 1-line block ×3, first 2 shown]
	v_add_f64 v[26:27], v[26:27], v[26:27]
	s_waitcnt vmcnt(1)
	v_add_f64 v[14:15], v[72:73], v[78:79]
	v_mul_f64 v[2:3], v[40:41], v[78:79]
	v_mul_f64 v[18:19], v[14:15], v[14:15]
	v_div_scale_f64 v[20:21], s[0:1], v[18:19], v[18:19], v[2:3]
	v_rcp_f64_e32 v[30:31], v[20:21]
	v_mul_f64 v[14:15], v[14:15], v[18:19]
	v_fma_f64 v[32:33], -v[20:21], v[30:31], 1.0
	v_fmac_f64_e32 v[30:31], v[30:31], v[32:33]
	v_fma_f64 v[32:33], -v[20:21], v[30:31], 1.0
	v_fmac_f64_e32 v[30:31], v[30:31], v[32:33]
	v_div_scale_f64 v[32:33], vcc, v[2:3], v[18:19], v[2:3]
	v_mul_f64 v[34:35], v[32:33], v[30:31]
	v_fma_f64 v[20:21], -v[20:21], v[34:35], v[32:33]
	s_nop 1
	v_div_fmas_f64 v[20:21], v[20:21], v[30:31], v[34:35]
	v_div_fixup_f64 v[2:3], v[20:21], v[18:19], v[2:3]
	v_add_f64 v[34:35], v[2:3], 1.0
	v_div_scale_f64 v[2:3], s[0:1], v[34:35], v[34:35], 1.0
	v_rcp_f64_e32 v[20:21], v[2:3]
	s_mov_b32 s0, 0
	s_mov_b32 s1, 0xc02e0000
	v_fma_f64 v[30:31], -v[2:3], v[20:21], 1.0
	v_fmac_f64_e32 v[20:21], v[20:21], v[30:31]
	v_fma_f64 v[30:31], -v[2:3], v[20:21], 1.0
	v_fmac_f64_e32 v[20:21], v[20:21], v[30:31]
	v_div_scale_f64 v[30:31], vcc, 1.0, v[34:35], 1.0
	v_mul_f64 v[32:33], v[30:31], v[20:21]
	v_fma_f64 v[2:3], -v[2:3], v[32:33], v[30:31]
	v_mul_f64 v[30:31], v[42:43], v[42:43]
	s_nop 0
	v_div_fmas_f64 v[2:3], v[2:3], v[20:21], v[32:33]
	v_add_f64 v[20:21], v[4:5], s[0:1]
	s_mov_b32 s0, 0x47ae147b
	s_mov_b32 s1, 0x3f847ae1
	v_cmp_lt_f64_e64 s[0:1], |v[20:21]|, s[0:1]
	s_waitcnt vmcnt(0)
	v_mul_f64 v[32:33], v[24:25], 4.0
	v_mul_f64 v[62:63], v[32:33], v[30:31]
	v_cndmask_b32_e64 v21, v21, v0, s[0:1]
	v_mov_b32_e32 v0, 0x47ae147b
	v_cndmask_b32_e64 v20, v20, v0, s[0:1]
	v_mul_f64 v[38:39], v[20:21], v[120:121]
	v_div_scale_f64 v[44:45], s[2:3], v[28:29], v[28:29], v[38:39]
	v_rcp_f64_e32 v[48:49], v[44:45]
	s_mov_b32 s2, 0x652b82fe
	s_mov_b32 s3, 0x3ff71547
	v_fma_f64 v[32:33], -v[44:45], v[48:49], 1.0
	v_fmac_f64_e32 v[48:49], v[48:49], v[32:33]
	v_fma_f64 v[32:33], -v[44:45], v[48:49], 1.0
	v_fmac_f64_e32 v[48:49], v[48:49], v[32:33]
	v_div_scale_f64 v[32:33], vcc, v[38:39], v[28:29], v[38:39]
	v_mul_f64 v[76:77], v[32:33], v[48:49]
	v_fma_f64 v[32:33], -v[44:45], v[76:77], v[32:33]
	s_nop 1
	v_div_fmas_f64 v[32:33], v[32:33], v[48:49], v[76:77]
	v_div_fixup_f64 v[32:33], v[32:33], v[28:29], v[38:39]
	v_mul_f64 v[38:39], v[32:33], s[2:3]
	s_mov_b32 s2, 0xfefa39ef
	v_rndne_f64_e32 v[38:39], v[38:39]
	s_mov_b32 s3, 0xbfe62e42
	v_fma_f64 v[44:45], s[2:3], v[38:39], v[32:33]
	s_mov_b32 s2, 0x3b39803f
	s_mov_b32 s3, 0xbc7abc9e
	v_fmac_f64_e32 v[44:45], s[2:3], v[38:39]
	s_mov_b32 s2, 0x6a5dcb37
	v_mov_b32_e32 v48, 0xfca7ab0c
	v_mov_b32_e32 v49, 0x3e928af3
	s_mov_b32 s3, 0x3e5ade15
	v_fmac_f64_e32 v[48:49], s[2:3], v[44:45]
	v_mov_b32_e32 v76, 0x623fde64
	v_mov_b32_e32 v77, 0x3ec71dee
	v_fmac_f64_e32 v[76:77], v[44:45], v[48:49]
	v_mov_b32_e32 v48, 0x7c89e6b0
	v_mov_b32_e32 v49, 0x3efa0199
	;; [unrolled: 3-line block ×8, first 2 shown]
	v_fmac_f64_e32 v[48:49], v[44:45], v[76:77]
	s_mov_b32 s2, 0
	v_fma_f64 v[48:49], v[44:45], v[48:49], 1.0
	s_mov_b32 s3, 0x40900000
	v_fma_f64 v[44:45], v[44:45], v[48:49], 1.0
	v_cvt_i32_f64_e32 v0, v[38:39]
	v_cmp_nlt_f64_e32 vcc, s[2:3], v[32:33]
	s_mov_b32 s2, 0
	v_ldexp_f64 v[38:39], v[44:45], v0
	v_mov_b32_e32 v0, 0x7ff00000
	s_mov_b32 s3, 0xc090cc00
	v_cndmask_b32_e32 v0, v0, v39, vcc
	v_cmp_ngt_f64_e64 s[2:3], s[2:3], v[32:33]
	s_and_b64 vcc, s[2:3], vcc
	v_cndmask_b32_e32 v32, 0, v38, vcc
	v_cndmask_b32_e64 v33, 0, v0, s[2:3]
	scratch_load_dwordx2 v[0:1], off, off offset:288 ; 8-byte Folded Reload
	v_fma_f64 v[74:75], v[74:75], v[32:33], -v[52:53]
	v_mul_f64 v[92:93], v[62:63], v[74:75]
	v_mul_f64 v[38:39], v[20:21], v[92:93]
	;; [unrolled: 1-line block ×6, first 2 shown]
	v_add_f64 v[38:39], v[32:33], -1.0
	v_mul_f64 v[86:87], v[28:29], v[38:39]
	v_div_scale_f64 v[62:63], s[2:3], v[86:87], v[86:87], v[48:49]
	v_rcp_f64_e32 v[76:77], v[62:63]
	v_div_fixup_f64 v[44:45], v[2:3], v[34:35], 1.0
	v_mul_f64 v[34:35], v[34:35], v[34:35]
	v_mul_f64 v[14:15], v[14:15], v[34:35]
	v_fma_f64 v[2:3], -v[62:63], v[76:77], 1.0
	v_fmac_f64_e32 v[76:77], v[76:77], v[2:3]
	v_fma_f64 v[2:3], -v[62:63], v[76:77], 1.0
	v_fmac_f64_e32 v[76:77], v[76:77], v[2:3]
	v_div_scale_f64 v[2:3], vcc, v[48:49], v[86:87], v[48:49]
	v_mul_f64 v[80:81], v[2:3], v[76:77]
	v_fma_f64 v[2:3], -v[62:63], v[80:81], v[2:3]
	v_div_scale_f64 v[62:63], s[2:3], v[104:105], v[104:105], v[8:9]
	s_nop 0
	v_div_fmas_f64 v[2:3], v[2:3], v[76:77], v[80:81]
	v_rcp_f64_e32 v[76:77], v[62:63]
	v_div_fixup_f64 v[2:3], v[2:3], v[86:87], v[48:49]
	s_waitcnt vmcnt(0)
	global_store_dwordx2 v[0:1], v[36:37], off
	scratch_load_dwordx2 v[0:1], off, off offset:16 ; 8-byte Folded Reload
	v_fma_f64 v[36:37], -v[62:63], v[76:77], 1.0
	v_fmac_f64_e32 v[76:77], v[76:77], v[36:37]
	v_fma_f64 v[36:37], -v[62:63], v[76:77], 1.0
	v_fmac_f64_e32 v[76:77], v[76:77], v[36:37]
	v_div_scale_f64 v[36:37], vcc, v[8:9], v[104:105], v[8:9]
	v_mul_f64 v[48:49], v[36:37], v[76:77]
	v_fma_f64 v[36:37], -v[62:63], v[48:49], v[36:37]
	v_div_scale_f64 v[62:63], s[2:3], v[104:105], v[104:105], v[6:7]
	v_rcp_f64_e32 v[80:81], v[62:63]
	v_div_fmas_f64 v[36:37], v[36:37], v[76:77], v[48:49]
	v_div_fixup_f64 v[36:37], v[36:37], v[104:105], v[8:9]
	v_fma_f64 v[8:9], -v[62:63], v[80:81], 1.0
	v_fmac_f64_e32 v[80:81], v[80:81], v[8:9]
	v_fma_f64 v[8:9], -v[62:63], v[80:81], 1.0
	v_fmac_f64_e32 v[80:81], v[80:81], v[8:9]
	v_div_scale_f64 v[8:9], vcc, v[6:7], v[104:105], v[6:7]
	v_mul_f64 v[48:49], v[8:9], v[80:81]
	v_fma_f64 v[62:63], -v[62:63], v[48:49], v[8:9]
	v_mul_f64 v[8:9], v[104:105], v[120:121]
	s_nop 0
	v_div_fmas_f64 v[48:49], v[62:63], v[80:81], v[48:49]
	v_div_fixup_f64 v[6:7], v[48:49], v[104:105], v[6:7]
	v_add_f64 v[6:7], v[36:37], -v[6:7]
	s_waitcnt vmcnt(0)
	v_mul_f64 v[76:77], v[0:1], v[2:3]
	v_div_scale_f64 v[110:111], s[2:3], v[8:9], v[8:9], v[76:77]
	v_rcp_f64_e32 v[118:119], v[110:111]
	s_nop 0
	v_fma_f64 v[36:37], -v[110:111], v[118:119], 1.0
	v_fmac_f64_e32 v[118:119], v[118:119], v[36:37]
	v_fma_f64 v[36:37], -v[110:111], v[118:119], 1.0
	v_fmac_f64_e32 v[118:119], v[118:119], v[36:37]
	v_div_scale_f64 v[36:37], vcc, v[76:77], v[8:9], v[76:77]
	v_mul_f64 v[48:49], v[36:37], v[118:119]
	v_fma_f64 v[36:37], -v[110:111], v[48:49], v[36:37]
	s_nop 1
	v_div_fmas_f64 v[36:37], v[36:37], v[118:119], v[48:49]
	v_mul_f64 v[48:49], v[126:127], v[126:127]
	v_mul_f64 v[26:27], v[26:27], v[48:49]
	;; [unrolled: 1-line block ×3, first 2 shown]
	v_div_scale_f64 v[62:63], s[2:3], v[58:59], v[58:59], v[48:49]
	v_rcp_f64_e32 v[80:81], v[62:63]
	v_div_fixup_f64 v[26:27], v[36:37], v[8:9], v[76:77]
	v_add_f64 v[26:27], v[6:7], -v[26:27]
	v_mul_f64 v[6:7], v[44:45], v[26:27]
	v_fma_f64 v[36:37], -v[62:63], v[80:81], 1.0
	v_fmac_f64_e32 v[80:81], v[80:81], v[36:37]
	v_fma_f64 v[36:37], -v[62:63], v[80:81], 1.0
	v_fmac_f64_e32 v[80:81], v[80:81], v[36:37]
	v_div_scale_f64 v[36:37], vcc, v[48:49], v[58:59], v[48:49]
	v_mul_f64 v[76:77], v[36:37], v[80:81]
	v_fma_f64 v[36:37], -v[62:63], v[76:77], v[36:37]
	v_add_f64 v[62:63], v[72:73], v[72:73]
	v_mul_f64 v[62:63], v[116:117], v[62:63]
	v_mul_f64 v[62:63], v[62:63], v[126:127]
	v_div_scale_f64 v[110:111], s[2:3], v[112:113], v[112:113], v[62:63]
	v_rcp_f64_e32 v[116:117], v[110:111]
	v_div_fmas_f64 v[36:37], v[36:37], v[80:81], v[76:77]
	v_div_fixup_f64 v[36:37], v[36:37], v[58:59], v[48:49]
	v_fma_f64 v[48:49], -v[110:111], v[116:117], 1.0
	v_fmac_f64_e32 v[116:117], v[116:117], v[48:49]
	v_fma_f64 v[48:49], -v[110:111], v[116:117], 1.0
	v_fmac_f64_e32 v[116:117], v[116:117], v[48:49]
	v_div_scale_f64 v[48:49], vcc, v[62:63], v[112:113], v[62:63]
	v_mul_f64 v[58:59], v[48:49], v[116:117]
	v_fma_f64 v[48:49], -v[110:111], v[58:59], v[48:49]
	s_nop 1
	v_div_fmas_f64 v[48:49], v[48:49], v[116:117], v[58:59]
	v_add_f64 v[58:59], v[40:41], v[40:41]
	v_mul_f64 v[58:59], v[58:59], v[78:79]
	v_div_scale_f64 v[18:19], s[2:3], v[14:15], v[14:15], v[58:59]
	v_rcp_f64_e32 v[34:35], v[18:19]
	v_div_fixup_f64 v[48:49], v[48:49], v[112:113], v[62:63]
	v_add_f64 v[36:37], v[48:49], -v[36:37]
	v_fma_f64 v[48:49], v[10:11], v[36:37], -v[60:61]
	v_fma_f64 v[60:61], -v[18:19], v[34:35], 1.0
	v_fmac_f64_e32 v[34:35], v[34:35], v[60:61]
	v_fma_f64 v[60:61], -v[18:19], v[34:35], 1.0
	v_fmac_f64_e32 v[34:35], v[34:35], v[60:61]
	v_div_scale_f64 v[60:61], vcc, v[58:59], v[14:15], v[58:59]
	v_mul_f64 v[62:63], v[60:61], v[34:35]
	v_fma_f64 v[18:19], -v[18:19], v[62:63], v[60:61]
	v_mul_f64 v[60:61], v[24:25], v[30:31]
	v_mul_f64 v[60:61], v[20:21], v[60:61]
	;; [unrolled: 1-line block ×7, first 2 shown]
	v_div_scale_f64 v[76:77], s[2:3], v[86:87], v[86:87], v[60:61]
	v_rcp_f64_e32 v[80:81], v[76:77]
	v_div_fmas_f64 v[18:19], v[18:19], v[34:35], v[62:63]
	v_fmac_f64_e32 v[48:49], v[10:11], v[36:37]
	v_div_fixup_f64 v[14:15], v[18:19], v[14:15], v[58:59]
	v_fma_f64 v[18:19], -v[76:77], v[80:81], 1.0
	v_mul_f64 v[10:11], v[108:109], v[48:49]
	v_fmac_f64_e32 v[80:81], v[80:81], v[18:19]
	v_div_scale_f64 v[36:37], s[2:3], v[104:105], v[104:105], v[10:11]
	v_fma_f64 v[18:19], -v[76:77], v[80:81], 1.0
	v_rcp_f64_e32 v[48:49], v[36:37]
	v_fmac_f64_e32 v[80:81], v[80:81], v[18:19]
	v_div_scale_f64 v[18:19], vcc, v[60:61], v[86:87], v[60:61]
	v_mul_f64 v[34:35], v[18:19], v[80:81]
	v_fma_f64 v[18:19], -v[76:77], v[34:35], v[18:19]
	s_nop 1
	v_div_fmas_f64 v[18:19], v[18:19], v[80:81], v[34:35]
	v_fma_f64 v[34:35], -v[36:37], v[48:49], 1.0
	v_fmac_f64_e32 v[48:49], v[48:49], v[34:35]
	v_fma_f64 v[34:35], -v[36:37], v[48:49], 1.0
	v_fmac_f64_e32 v[48:49], v[48:49], v[34:35]
	v_div_scale_f64 v[34:35], vcc, v[10:11], v[104:105], v[10:11]
	v_mul_f64 v[58:59], v[34:35], v[48:49]
	v_fma_f64 v[34:35], -v[36:37], v[58:59], v[34:35]
	v_mul_f64 v[36:37], v[106:107], v[100:101]
	v_div_fixup_f64 v[18:19], v[18:19], v[86:87], v[60:61]
	v_div_scale_f64 v[60:61], s[2:3], v[104:105], v[104:105], v[36:37]
	v_rcp_f64_e32 v[62:63], v[60:61]
	v_div_fmas_f64 v[34:35], v[34:35], v[48:49], v[58:59]
	v_div_fixup_f64 v[10:11], v[34:35], v[104:105], v[10:11]
	v_mul_f64 v[18:19], v[0:1], v[18:19]
	v_fma_f64 v[34:35], -v[60:61], v[62:63], 1.0
	v_fmac_f64_e32 v[62:63], v[62:63], v[34:35]
	v_fma_f64 v[34:35], -v[60:61], v[62:63], 1.0
	v_fmac_f64_e32 v[62:63], v[62:63], v[34:35]
	v_div_scale_f64 v[34:35], vcc, v[36:37], v[104:105], v[36:37]
	v_mul_f64 v[48:49], v[34:35], v[62:63]
	v_div_scale_f64 v[58:59], s[2:3], v[8:9], v[8:9], v[18:19]
	v_fma_f64 v[34:35], -v[60:61], v[48:49], v[34:35]
	v_rcp_f64_e32 v[60:61], v[58:59]
	v_div_fmas_f64 v[34:35], v[34:35], v[62:63], v[48:49]
	v_div_fixup_f64 v[34:35], v[34:35], v[104:105], v[36:37]
	v_add_f64 v[10:11], v[10:11], -v[34:35]
	v_fma_f64 v[34:35], -v[58:59], v[60:61], 1.0
	v_fmac_f64_e32 v[60:61], v[60:61], v[34:35]
	v_fma_f64 v[34:35], -v[58:59], v[60:61], 1.0
	v_fmac_f64_e32 v[60:61], v[60:61], v[34:35]
	v_div_scale_f64 v[34:35], vcc, v[18:19], v[8:9], v[18:19]
	v_mul_f64 v[36:37], v[34:35], v[60:61]
	v_fma_f64 v[34:35], -v[58:59], v[36:37], v[34:35]
	s_mov_b32 s2, 0xe2308c3a
	s_nop 0
	v_div_fmas_f64 v[34:35], v[34:35], v[60:61], v[36:37]
	v_div_fixup_f64 v[8:9], v[34:35], v[8:9], v[18:19]
	v_add_f64 v[10:11], v[10:11], -v[8:9]
	v_mul_f64 v[8:9], v[14:15], v[26:27]
	v_fmac_f64_e32 v[8:9], v[44:45], v[10:11]
	s_mov_b32 s3, 0x3e45798e
	v_cmp_ngt_f64_e64 s[2:3], |v[8:9]|, s[2:3]
                                        ; implicit-def: $vgpr58_vgpr59
	s_and_saveexec_b64 s[4:5], s[2:3]
	s_xor_b64 s[2:3], exec, s[4:5]
; %bb.70:
	v_mul_f64 v[58:59], s[12:13], v[6:7]
                                        ; implicit-def: $vgpr8_vgpr9
                                        ; implicit-def: $vgpr6_vgpr7
; %bb.71:
	s_andn2_saveexec_b64 s[4:5], s[2:3]
	s_cbranch_execz .LBB0_73
; %bb.72:
	s_mov_b32 s2, 0x652b82fe
	v_mul_f64 v[10:11], s[12:13], v[8:9]
	s_mov_b32 s3, 0x3ff71547
	v_mul_f64 v[14:15], v[10:11], s[2:3]
	s_mov_b32 s2, 0xfefa39ef
	v_rndne_f64_e32 v[14:15], v[14:15]
	s_mov_b32 s3, 0xbfe62e42
	v_fma_f64 v[18:19], s[2:3], v[14:15], v[10:11]
	s_mov_b32 s2, 0x3b39803f
	s_mov_b32 s3, 0xbc7abc9e
	v_fmac_f64_e32 v[18:19], s[2:3], v[14:15]
	s_mov_b32 s2, 0x6a5dcb37
	v_mov_b32_e32 v26, 0xfca7ab0c
	v_mov_b32_e32 v27, 0x3e928af3
	s_mov_b32 s3, 0x3e5ade15
	v_fmac_f64_e32 v[26:27], s[2:3], v[18:19]
	v_mov_b32_e32 v34, 0x623fde64
	v_mov_b32_e32 v35, 0x3ec71dee
	v_fmac_f64_e32 v[34:35], v[18:19], v[26:27]
	v_mov_b32_e32 v26, 0x7c89e6b0
	v_mov_b32_e32 v27, 0x3efa0199
	v_fmac_f64_e32 v[26:27], v[18:19], v[34:35]
	v_mov_b32_e32 v34, 0x14761f6e
	v_mov_b32_e32 v35, 0x3f2a01a0
	v_fmac_f64_e32 v[34:35], v[18:19], v[26:27]
	v_mov_b32_e32 v26, 0x1852b7b0
	v_mov_b32_e32 v27, 0x3f56c16c
	v_fmac_f64_e32 v[26:27], v[18:19], v[34:35]
	v_mov_b32_e32 v34, 0x11122322
	v_mov_b32_e32 v35, 0x3f811111
	v_fmac_f64_e32 v[34:35], v[18:19], v[26:27]
	v_mov_b32_e32 v26, 0x555502a1
	v_mov_b32_e32 v27, 0x3fa55555
	v_fmac_f64_e32 v[26:27], v[18:19], v[34:35]
	v_mov_b32_e32 v34, 0x55555511
	v_mov_b32_e32 v35, 0x3fc55555
	v_fmac_f64_e32 v[34:35], v[18:19], v[26:27]
	v_mov_b32_e32 v26, 11
	v_mov_b32_e32 v27, 0x3fe00000
	v_fmac_f64_e32 v[26:27], v[18:19], v[34:35]
	s_mov_b32 s2, 0
	v_fma_f64 v[26:27], v[18:19], v[26:27], 1.0
	s_mov_b32 s3, 0x40900000
	v_fma_f64 v[18:19], v[18:19], v[26:27], 1.0
	v_cvt_i32_f64_e32 v0, v[14:15]
	v_cmp_nlt_f64_e32 vcc, s[2:3], v[10:11]
	s_mov_b32 s2, 0
	v_ldexp_f64 v[14:15], v[18:19], v0
	s_mov_b32 s3, 0xc090cc00
	v_add_f64 v[14:15], v[14:15], -1.0
	v_mov_b32_e32 v0, 0x7ff00000
	v_cmp_ngt_f64_e64 s[2:3], s[2:3], v[10:11]
	v_cndmask_b32_e32 v0, v0, v15, vcc
	v_mov_b32_e32 v1, 0xbff00000
	s_and_b64 vcc, s[2:3], vcc
	v_cndmask_b32_e64 v11, v1, v0, s[2:3]
	v_cndmask_b32_e32 v10, 0, v14, vcc
	v_mul_f64 v[6:7], v[6:7], v[10:11]
	v_div_scale_f64 v[10:11], s[2:3], v[8:9], v[8:9], v[6:7]
	v_rcp_f64_e32 v[14:15], v[10:11]
	s_nop 0
	v_fma_f64 v[18:19], -v[10:11], v[14:15], 1.0
	v_fmac_f64_e32 v[14:15], v[14:15], v[18:19]
	v_fma_f64 v[18:19], -v[10:11], v[14:15], 1.0
	v_fmac_f64_e32 v[14:15], v[14:15], v[18:19]
	v_div_scale_f64 v[18:19], vcc, v[6:7], v[8:9], v[6:7]
	v_mul_f64 v[26:27], v[18:19], v[14:15]
	v_fma_f64 v[10:11], -v[10:11], v[26:27], v[18:19]
	s_nop 1
	v_div_fmas_f64 v[10:11], v[10:11], v[14:15], v[26:27]
	v_div_fixup_f64 v[58:59], v[10:11], v[8:9], v[6:7]
.LBB0_73:
	s_or_b64 exec, exec, s[4:5]
	scratch_load_dwordx2 v[0:1], off, off offset:280 ; 8-byte Folded Reload
	v_mul_f64 v[6:7], v[4:5], -v[42:43]
	v_div_scale_f64 v[8:9], s[2:3], v[28:29], v[28:29], v[6:7]
	v_rcp_f64_e32 v[18:19], v[8:9]
	s_mov_b32 s8, 0x652b82fe
	s_mov_b32 s9, 0x3ff71547
	;; [unrolled: 1-line block ×3, first 2 shown]
	v_fma_f64 v[26:27], -v[8:9], v[18:19], 1.0
	v_fmac_f64_e32 v[18:19], v[18:19], v[26:27]
	v_fma_f64 v[26:27], -v[8:9], v[18:19], 1.0
	v_fmac_f64_e32 v[18:19], v[18:19], v[26:27]
	v_div_scale_f64 v[26:27], vcc, v[6:7], v[28:29], v[6:7]
	v_mul_f64 v[34:35], v[26:27], v[18:19]
	v_fma_f64 v[8:9], -v[8:9], v[34:35], v[26:27]
	s_mov_b32 s4, 0xfefa39ef
	s_nop 0
	v_div_fmas_f64 v[8:9], v[8:9], v[18:19], v[34:35]
	v_div_fixup_f64 v[18:19], v[8:9], v[28:29], v[6:7]
	v_mul_f64 v[6:7], v[18:19], s[8:9]
	v_rndne_f64_e32 v[8:9], v[6:7]
	s_mov_b32 s2, 0xfca7ab0c
	v_fma_f64 v[26:27], s[4:5], v[8:9], v[18:19]
	s_mov_b32 s7, 0xbc7abc9e
	s_mov_b32 s6, 0x3b39803f
	;; [unrolled: 1-line block ×4, first 2 shown]
	v_fmac_f64_e32 v[26:27], s[6:7], v[8:9]
	s_mov_b32 s15, 0x3e5ade15
	v_mov_b64_e32 v[6:7], s[2:3]
	s_mov_b32 s16, 0x623fde64
	v_fma_f64 v[34:35], s[14:15], v[26:27], v[6:7]
	s_mov_b32 s17, 0x3ec71dee
	s_mov_b32 s18, 0x7c89e6b0
	v_fma_f64 v[34:35], v[26:27], v[34:35], s[16:17]
	s_mov_b32 s19, 0x3efa0199
	;; [unrolled: 3-line block ×8, first 2 shown]
	v_fma_f64 v[34:35], v[26:27], v[34:35], s[30:31]
	v_fma_f64 v[34:35], v[26:27], v[34:35], 1.0
	s_mov_b32 s34, 0
	v_fma_f64 v[26:27], v[26:27], v[34:35], 1.0
	s_mov_b32 s35, 0x40900000
	s_mov_b32 s36, 0
	v_cmp_nlt_f64_e32 vcc, s[34:35], v[18:19]
	s_mov_b32 s37, 0xc090cc00
	v_cmp_ngt_f64_e64 s[2:3], s[36:37], v[18:19]
                                        ; implicit-def: $vgpr124_vgpr125
	scratch_load_dwordx2 v[78:79], off, off offset:24 ; 8-byte Folded Reload
	scratch_load_dwordx2 v[24:25], off, off offset:16 ; 8-byte Folded Reload
	s_waitcnt vmcnt(2)
	v_mul_f64 v[104:105], v[0:1], v[82:83]
	scratch_load_dwordx2 v[0:1], off, off offset:264 ; 8-byte Folded Reload
	v_mul_f64 v[10:11], v[46:47], v[104:105]
	s_waitcnt vmcnt(0)
	v_add_f64 v[14:15], v[46:47], v[0:1]
	scratch_load_dwordx2 v[0:1], off, off offset:272 ; 8-byte Folded Reload
	s_waitcnt vmcnt(0)
	v_add_f64 v[36:37], v[0:1], v[82:83]
	v_cvt_i32_f64_e32 v0, v[8:9]
	v_ldexp_f64 v[26:27], v[26:27], v0
	v_mov_b32_e32 v8, 0x7ff00000
	v_cndmask_b32_e32 v0, v8, v27, vcc
	s_and_b64 vcc, s[2:3], vcc
	v_cndmask_b32_e64 v111, 0, v0, s[2:3]
	s_mov_b32 s2, 0x7318fc50
	v_cndmask_b32_e32 v110, 0, v26, vcc
	s_mov_b32 s3, 0x3fa212d7
	v_fma_f64 v[108:109], v[110:111], s[2:3], 1.0
	s_mov_b32 s2, 0x9999999a
	s_mov_b32 s3, 0xbfb99999
	v_mul_f64 v[18:19], v[42:43], s[2:3]
	v_mul_f64 v[18:19], v[4:5], v[18:19]
	v_div_scale_f64 v[26:27], s[2:3], v[28:29], v[28:29], v[18:19]
	v_rcp_f64_e32 v[34:35], v[26:27]
	v_mul_f64 v[106:107], v[14:15], v[36:37]
	v_mov_b32_e32 v9, 0xfff80000
	v_mul_f64 v[14:15], v[14:15], v[14:15]
	v_fma_f64 v[44:45], -v[26:27], v[34:35], 1.0
	v_fmac_f64_e32 v[34:35], v[34:35], v[44:45]
	v_fma_f64 v[44:45], -v[26:27], v[34:35], 1.0
	v_fmac_f64_e32 v[34:35], v[34:35], v[44:45]
	v_div_scale_f64 v[44:45], vcc, v[18:19], v[28:29], v[18:19]
	v_mul_f64 v[48:49], v[44:45], v[34:35]
	v_fma_f64 v[26:27], -v[26:27], v[48:49], v[44:45]
	v_mul_f64 v[14:15], v[14:15], v[36:37]
	s_nop 0
	v_div_fmas_f64 v[26:27], v[26:27], v[34:35], v[48:49]
	v_div_fixup_f64 v[18:19], v[26:27], v[28:29], v[18:19]
	v_mul_f64 v[26:27], v[18:19], s[8:9]
	v_rndne_f64_e32 v[26:27], v[26:27]
	v_fma_f64 v[34:35], s[4:5], v[26:27], v[18:19]
	v_fmac_f64_e32 v[34:35], s[6:7], v[26:27]
	v_fmac_f64_e32 v[6:7], s[14:15], v[34:35]
	v_fma_f64 v[6:7], v[34:35], v[6:7], s[16:17]
	v_fma_f64 v[6:7], v[34:35], v[6:7], s[18:19]
	;; [unrolled: 1-line block ×8, first 2 shown]
	v_fma_f64 v[6:7], v[34:35], v[6:7], 1.0
	v_fma_f64 v[6:7], v[34:35], v[6:7], 1.0
	v_cvt_i32_f64_e32 v0, v[26:27]
	v_ldexp_f64 v[6:7], v[6:7], v0
	v_cmp_nlt_f64_e32 vcc, s[34:35], v[18:19]
	v_cmp_ngt_f64_e64 s[2:3], s[36:37], v[18:19]
	s_mov_b32 s5, 0x3fe62e42
	v_cndmask_b32_e32 v0, v8, v7, vcc
	s_and_b64 vcc, s[2:3], vcc
	v_cndmask_b32_e64 v113, 0, v0, s[2:3]
	s_mov_b32 s2, 0x645a1cac
	v_cndmask_b32_e32 v112, 0, v6, vcc
	s_mov_b32 s3, 0x3fbfdf3b
	v_fmac_f64_e32 v[108:109], s[2:3], v[112:113]
	v_mul_f64 v[18:19], v[106:107], v[108:109]
	v_div_scale_f64 v[6:7], s[2:3], v[18:19], v[18:19], v[10:11]
	v_rcp_f64_e32 v[26:27], v[6:7]
	s_mov_b32 s7, 0x3c7abc9e
	v_mul_f64 v[14:15], v[14:15], v[108:109]
	v_fma_f64 v[34:35], -v[6:7], v[26:27], 1.0
	v_fmac_f64_e32 v[26:27], v[26:27], v[34:35]
	v_fma_f64 v[34:35], -v[6:7], v[26:27], 1.0
	v_fmac_f64_e32 v[26:27], v[26:27], v[34:35]
	v_div_scale_f64 v[34:35], vcc, v[10:11], v[18:19], v[10:11]
	v_mul_f64 v[44:45], v[34:35], v[26:27]
	v_fma_f64 v[6:7], -v[6:7], v[44:45], v[34:35]
	s_nop 1
	v_div_fmas_f64 v[6:7], v[6:7], v[26:27], v[44:45]
	v_div_fixup_f64 v[26:27], v[6:7], v[18:19], v[10:11]
	v_div_scale_f64 v[6:7], s[2:3], v[46:47], v[46:47], v[88:89]
	v_rcp_f64_e32 v[34:35], v[6:7]
	s_mov_b32 s2, 0x55555555
	s_mov_b32 s3, 0x3fe55555
	v_fma_f64 v[44:45], -v[6:7], v[34:35], 1.0
	v_fmac_f64_e32 v[34:35], v[34:35], v[44:45]
	v_fma_f64 v[44:45], -v[6:7], v[34:35], 1.0
	v_fmac_f64_e32 v[34:35], v[34:35], v[44:45]
	v_div_scale_f64 v[44:45], vcc, v[88:89], v[46:47], v[88:89]
	v_mul_f64 v[48:49], v[44:45], v[34:35]
	v_fma_f64 v[6:7], -v[6:7], v[48:49], v[44:45]
	s_nop 1
	v_div_fmas_f64 v[6:7], v[6:7], v[34:35], v[48:49]
	v_div_fixup_f64 v[6:7], v[6:7], v[46:47], v[88:89]
	v_frexp_mant_f64_e32 v[34:35], v[6:7]
	v_cmp_gt_f64_e32 vcc, s[2:3], v[34:35]
	s_mov_b32 s2, 0xbf559e2b
	s_mov_b32 s3, 0x3fc3ab76
	v_cndmask_b32_e64 v1, 0, 1, vcc
	v_ldexp_f64 v[34:35], v[34:35], v1
	v_add_f64 v[48:49], v[34:35], 1.0
	v_add_f64 v[60:61], v[48:49], -1.0
	v_add_f64 v[44:45], v[34:35], -1.0
	v_add_f64 v[34:35], v[34:35], -v[60:61]
	v_rcp_f64_e32 v[60:61], v[48:49]
	v_frexp_exp_i32_f64_e32 v0, v[6:7]
	v_subbrev_co_u32_e32 v0, vcc, 0, v0, vcc
	v_fma_f64 v[62:63], -v[48:49], v[60:61], 1.0
	v_fmac_f64_e32 v[60:61], v[62:63], v[60:61]
	v_fma_f64 v[62:63], -v[48:49], v[60:61], 1.0
	v_fmac_f64_e32 v[60:61], v[62:63], v[60:61]
	v_mul_f64 v[62:63], v[44:45], v[60:61]
	v_mul_f64 v[76:77], v[48:49], v[62:63]
	v_fma_f64 v[48:49], v[62:63], v[48:49], -v[76:77]
	v_fmac_f64_e32 v[48:49], v[62:63], v[34:35]
	v_add_f64 v[34:35], v[76:77], v[48:49]
	v_add_f64 v[80:81], v[44:45], -v[34:35]
	v_add_f64 v[76:77], v[34:35], -v[76:77]
	;; [unrolled: 1-line block ×5, first 2 shown]
	v_add_f64 v[34:35], v[44:45], v[34:35]
	v_add_f64 v[34:35], v[80:81], v[34:35]
	v_mul_f64 v[34:35], v[60:61], v[34:35]
	v_add_f64 v[44:45], v[62:63], v[34:35]
	v_add_f64 v[48:49], v[44:45], -v[62:63]
	v_add_f64 v[34:35], v[34:35], -v[48:49]
	v_mul_f64 v[48:49], v[44:45], v[44:45]
	v_mov_b32_e32 v60, 0x6b47b09a
	v_mov_b32_e32 v61, 0x3fc38538
	v_fmac_f64_e32 v[60:61], s[2:3], v[48:49]
	v_mov_b32_e32 v62, 0xd7f4df2e
	v_mov_b32_e32 v63, 0x3fc7474d
	v_fmac_f64_e32 v[62:63], v[48:49], v[60:61]
	;; [unrolled: 3-line block ×6, first 2 shown]
	v_ldexp_f64 v[60:61], v[44:45], 1
	v_mul_f64 v[44:45], v[44:45], v[48:49]
	v_mul_f64 v[44:45], v[44:45], v[62:63]
	v_add_f64 v[48:49], v[60:61], v[44:45]
	v_add_f64 v[60:61], v[48:49], -v[60:61]
	v_ldexp_f64 v[34:35], v[34:35], 1
	v_add_f64 v[44:45], v[44:45], -v[60:61]
	v_add_f64 v[34:35], v[34:35], v[44:45]
	v_add_f64 v[44:45], v[48:49], v[34:35]
	v_add_f64 v[48:49], v[44:45], -v[48:49]
	v_add_f64 v[34:35], v[34:35], -v[48:49]
	v_cvt_f64_i32_e32 v[48:49], v0
	v_mul_f64 v[60:61], v[48:49], s[4:5]
	v_fma_f64 v[62:63], v[48:49], s[4:5], -v[60:61]
	v_fmac_f64_e32 v[62:63], s[6:7], v[48:49]
	v_add_f64 v[48:49], v[60:61], v[62:63]
	v_add_f64 v[60:61], v[48:49], -v[60:61]
	v_add_f64 v[60:61], v[62:63], -v[60:61]
	v_add_f64 v[62:63], v[48:49], v[44:45]
	v_add_f64 v[76:77], v[62:63], -v[48:49]
	v_add_f64 v[80:81], v[62:63], -v[76:77]
	;; [unrolled: 1-line block ×4, first 2 shown]
	v_add_f64 v[44:45], v[44:45], v[48:49]
	v_add_f64 v[48:49], v[60:61], v[34:35]
	v_add_f64 v[76:77], v[48:49], -v[60:61]
	v_add_f64 v[80:81], v[48:49], -v[76:77]
	v_add_f64 v[44:45], v[48:49], v[44:45]
	v_add_f64 v[60:61], v[60:61], -v[80:81]
	v_add_f64 v[34:35], v[34:35], -v[76:77]
	v_add_f64 v[48:49], v[62:63], v[44:45]
	v_add_f64 v[34:35], v[34:35], v[60:61]
	v_add_f64 v[60:61], v[48:49], -v[62:63]
	v_add_f64 v[44:45], v[44:45], -v[60:61]
	v_add_f64 v[34:35], v[34:35], v[44:45]
	s_movk_i32 s2, 0x204
	v_add_f64 v[34:35], v[48:49], v[34:35]
	v_cmp_class_f64_e64 vcc, v[6:7], s2
	v_mul_f64 v[80:81], v[42:43], v[100:101]
	s_nop 0
	v_cndmask_b32_e32 v0, v34, v6, vcc
	v_cndmask_b32_e64 v1, -v35, -v7, vcc
	v_cmp_ngt_f64_e32 vcc, 0, v[6:7]
	s_nop 1
	v_cndmask_b32_e32 v1, v9, v1, vcc
	v_cmp_nge_f64_e32 vcc, 0, v[6:7]
	s_nop 1
	v_cndmask_b32_e32 v34, 0, v0, vcc
	v_cmp_neq_f64_e32 vcc, 0, v[6:7]
	s_nop 1
	v_cndmask_b32_e32 v35, v8, v1, vcc
	scratch_load_dwordx2 v[0:1], off, off offset:80 ; 8-byte Folded Reload
	v_mul_f64 v[6:7], v[28:29], v[34:35]
	v_div_scale_f64 v[8:9], s[2:3], v[42:43], v[42:43], v[6:7]
	v_rcp_f64_e32 v[34:35], v[8:9]
	s_mov_b32 s2, 0
	s_mov_b32 s3, 0xc0080000
	v_fma_f64 v[44:45], -v[8:9], v[34:35], 1.0
	v_fmac_f64_e32 v[34:35], v[34:35], v[44:45]
	v_fma_f64 v[44:45], -v[8:9], v[34:35], 1.0
	v_fmac_f64_e32 v[34:35], v[34:35], v[44:45]
	v_div_scale_f64 v[44:45], vcc, v[6:7], v[42:43], v[6:7]
	v_mul_f64 v[48:49], v[44:45], v[34:35]
	v_fma_f64 v[8:9], -v[8:9], v[48:49], v[44:45]
	s_nop 1
	v_div_fmas_f64 v[8:9], v[8:9], v[34:35], v[48:49]
	v_div_fixup_f64 v[6:7], v[8:9], v[42:43], v[6:7]
	v_add_f64 v[8:9], v[4:5], v[6:7]
	s_waitcnt vmcnt(0)
	v_mul_f64 v[6:7], v[0:1], v[0:1]
	v_mul_f64 v[6:7], v[0:1], v[6:7]
	scratch_load_dwordx2 v[0:1], off, off offset:256 ; 8-byte Folded Reload
	s_waitcnt vmcnt(0)
	v_mul_f64 v[34:35], v[6:7], v[0:1]
	scratch_load_dwordx2 v[0:1], off, off offset:248 ; 8-byte Folded Reload
	v_mul_f64 v[6:7], v[34:35], v[8:9]
	v_mul_f64 v[6:7], v[98:99], v[6:7]
	;; [unrolled: 1-line block ×3, first 2 shown]
	v_add_f64 v[6:7], v[72:73], v[58:59]
	v_mul_f64 v[98:99], v[98:99], v[34:35]
	v_mul_f64 v[34:35], v[78:79], v[98:99]
	s_waitcnt vmcnt(0)
	global_store_dwordx2 v[0:1], v[6:7], off
	scratch_load_dwordx2 v[0:1], off, off offset:40 ; 8-byte Folded Reload
	s_waitcnt vmcnt(0)
	v_fma_f64 v[6:7], -v[0:1], v[8:9], -v[116:117]
	v_fmac_f64_e32 v[6:7], 0xc0080000, v[22:23]
	v_fmac_f64_e32 v[6:7], 0xc0080000, v[26:27]
	v_mul_f64 v[6:7], v[24:25], v[6:7]
	v_div_scale_f64 v[44:45], s[4:5], v[80:81], v[80:81], v[6:7]
	v_rcp_f64_e32 v[48:49], v[44:45]
	s_nop 0
	v_fma_f64 v[58:59], -v[44:45], v[48:49], 1.0
	v_fmac_f64_e32 v[48:49], v[48:49], v[58:59]
	v_fma_f64 v[58:59], -v[44:45], v[48:49], 1.0
	v_fmac_f64_e32 v[48:49], v[48:49], v[58:59]
	v_div_scale_f64 v[58:59], vcc, v[6:7], v[80:81], v[6:7]
	v_mul_f64 v[60:61], v[58:59], v[48:49]
	v_fma_f64 v[44:45], -v[44:45], v[60:61], v[58:59]
	s_nop 1
	v_div_fmas_f64 v[44:45], v[44:45], v[48:49], v[60:61]
	v_div_fixup_f64 v[6:7], v[44:45], v[80:81], v[6:7]
	scratch_load_dwordx2 v[40:41], off, off offset:64 ; 8-byte Folded Reload
	scratch_load_dwordx2 v[44:45], off, off offset:72 ; 8-byte Folded Reload
	s_waitcnt vmcnt(0)
	v_mul_f64 v[100:101], v[44:45], -v[40:41]
	scratch_load_dwordx2 v[40:41], off, off offset:48 ; 8-byte Folded Reload
	v_mul_f64 v[44:45], v[46:47], v[42:43]
	v_div_scale_f64 v[48:49], s[4:5], v[44:45], v[44:45], v[100:101]
	v_rcp_f64_e32 v[58:59], v[48:49]
	s_mov_b32 s4, 0
	s_mov_b32 s5, 0x40080000
	v_fma_f64 v[60:61], -v[48:49], v[58:59], 1.0
	v_fmac_f64_e32 v[58:59], v[58:59], v[60:61]
	v_fma_f64 v[60:61], -v[48:49], v[58:59], 1.0
	v_fmac_f64_e32 v[58:59], v[58:59], v[60:61]
	v_div_scale_f64 v[60:61], vcc, v[100:101], v[44:45], v[100:101]
	v_mul_f64 v[62:63], v[60:61], v[58:59]
	v_fma_f64 v[48:49], -v[48:49], v[62:63], v[60:61]
	s_nop 1
	v_div_fmas_f64 v[48:49], v[48:49], v[58:59], v[62:63]
	v_div_fixup_f64 v[44:45], v[48:49], v[44:45], v[100:101]
	v_mul_f64 v[48:49], v[52:53], s[4:5]
	v_div_scale_f64 v[36:37], s[4:5], v[14:15], v[14:15], v[10:11]
	s_waitcnt vmcnt(0)
	v_mul_f64 v[48:49], v[40:41], v[48:49]
	v_mul_f64 v[48:49], v[114:115], v[48:49]
	;; [unrolled: 1-line block ×3, first 2 shown]
	v_div_scale_f64 v[58:59], s[4:5], v[56:57], v[56:57], v[48:49]
	v_rcp_f64_e32 v[60:61], v[58:59]
	s_nop 0
	v_fma_f64 v[62:63], -v[58:59], v[60:61], 1.0
	v_fmac_f64_e32 v[60:61], v[60:61], v[62:63]
	v_fma_f64 v[62:63], -v[58:59], v[60:61], 1.0
	v_fmac_f64_e32 v[60:61], v[60:61], v[62:63]
	v_div_scale_f64 v[62:63], vcc, v[48:49], v[56:57], v[48:49]
	v_mul_f64 v[76:77], v[62:63], v[60:61]
	v_fma_f64 v[58:59], -v[58:59], v[76:77], v[62:63]
	s_nop 1
	v_div_fmas_f64 v[58:59], v[58:59], v[60:61], v[76:77]
	v_div_fixup_f64 v[48:49], v[58:59], v[56:57], v[48:49]
	v_div_scale_f64 v[58:59], s[4:5], v[18:19], v[18:19], v[104:105]
	v_rcp_f64_e32 v[60:61], v[58:59]
	s_nop 0
	v_fma_f64 v[62:63], -v[58:59], v[60:61], 1.0
	v_fmac_f64_e32 v[60:61], v[60:61], v[62:63]
	v_fma_f64 v[62:63], -v[58:59], v[60:61], 1.0
	v_fmac_f64_e32 v[60:61], v[60:61], v[62:63]
	v_div_scale_f64 v[62:63], vcc, v[104:105], v[18:19], v[104:105]
	v_mul_f64 v[76:77], v[62:63], v[60:61]
	v_fma_f64 v[58:59], -v[58:59], v[76:77], v[62:63]
	s_nop 1
	v_div_fmas_f64 v[58:59], v[58:59], v[60:61], v[76:77]
	v_div_fixup_f64 v[18:19], v[58:59], v[18:19], v[104:105]
	v_rcp_f64_e32 v[58:59], v[36:37]
	s_nop 0
	v_fma_f64 v[60:61], -v[36:37], v[58:59], 1.0
	v_fmac_f64_e32 v[58:59], v[58:59], v[60:61]
	v_fma_f64 v[60:61], -v[36:37], v[58:59], 1.0
	v_fmac_f64_e32 v[58:59], v[58:59], v[60:61]
	v_div_scale_f64 v[60:61], vcc, v[10:11], v[14:15], v[10:11]
	v_mul_f64 v[62:63], v[60:61], v[58:59]
	v_fma_f64 v[36:37], -v[36:37], v[62:63], v[60:61]
	s_nop 1
	v_div_fmas_f64 v[36:37], v[36:37], v[58:59], v[62:63]
	v_div_fixup_f64 v[10:11], v[36:37], v[14:15], v[10:11]
	v_add_f64 v[10:11], v[18:19], -v[10:11]
	v_mul_f64 v[10:11], v[10:11], s[2:3]
	v_fmac_f64_e32 v[10:11], 0xc0080000, v[48:49]
	v_fmac_f64_e32 v[10:11], v[0:1], v[44:45]
	;; [unrolled: 1-line block ×3, first 2 shown]
	v_mul_f64 v[10:11], v[24:25], v[10:11]
	v_div_scale_f64 v[14:15], s[2:3], v[80:81], v[80:81], v[10:11]
	v_rcp_f64_e32 v[18:19], v[14:15]
	s_mov_b32 s2, 0xe2308c3a
	s_mov_b32 s3, 0x3e45798e
	v_fma_f64 v[34:35], -v[14:15], v[18:19], 1.0
	v_fmac_f64_e32 v[18:19], v[18:19], v[34:35]
	v_fma_f64 v[34:35], -v[14:15], v[18:19], 1.0
	v_fmac_f64_e32 v[18:19], v[18:19], v[34:35]
	v_div_scale_f64 v[34:35], vcc, v[10:11], v[80:81], v[10:11]
	v_mul_f64 v[36:37], v[34:35], v[18:19]
	v_fma_f64 v[14:15], -v[14:15], v[36:37], v[34:35]
	s_nop 1
	v_div_fmas_f64 v[14:15], v[14:15], v[18:19], v[36:37]
	v_div_fixup_f64 v[10:11], v[14:15], v[80:81], v[10:11]
	v_cmp_ngt_f64_e64 s[2:3], |v[10:11]|, s[2:3]
	s_and_saveexec_b64 s[4:5], s[2:3]
	s_xor_b64 s[2:3], exec, s[4:5]
; %bb.74:
	v_mul_f64 v[124:125], s[12:13], v[6:7]
                                        ; implicit-def: $vgpr10_vgpr11
                                        ; implicit-def: $vgpr6_vgpr7
; %bb.75:
	s_or_saveexec_b64 s[4:5], s[2:3]
	scratch_load_dwordx2 v[0:1], off, off offset:40 ; 8-byte Folded Reload
	s_waitcnt vmcnt(0)
	v_mul_f64 v[118:119], v[0:1], v[8:9]
	s_xor_b64 exec, exec, s[4:5]
	s_cbranch_execz .LBB0_77
; %bb.76:
	s_mov_b32 s2, 0x652b82fe
	v_mul_f64 v[8:9], s[12:13], v[10:11]
	s_mov_b32 s3, 0x3ff71547
	v_mul_f64 v[14:15], v[8:9], s[2:3]
	s_mov_b32 s2, 0xfefa39ef
	v_rndne_f64_e32 v[14:15], v[14:15]
	s_mov_b32 s3, 0xbfe62e42
	v_fma_f64 v[18:19], s[2:3], v[14:15], v[8:9]
	s_mov_b32 s2, 0x3b39803f
	s_mov_b32 s3, 0xbc7abc9e
	v_fmac_f64_e32 v[18:19], s[2:3], v[14:15]
	s_mov_b32 s2, 0x6a5dcb37
	v_mov_b32_e32 v34, 0xfca7ab0c
	v_mov_b32_e32 v35, 0x3e928af3
	s_mov_b32 s3, 0x3e5ade15
	v_fmac_f64_e32 v[34:35], s[2:3], v[18:19]
	v_mov_b32_e32 v36, 0x623fde64
	v_mov_b32_e32 v37, 0x3ec71dee
	v_fmac_f64_e32 v[36:37], v[18:19], v[34:35]
	v_mov_b32_e32 v34, 0x7c89e6b0
	v_mov_b32_e32 v35, 0x3efa0199
	v_fmac_f64_e32 v[34:35], v[18:19], v[36:37]
	v_mov_b32_e32 v36, 0x14761f6e
	v_mov_b32_e32 v37, 0x3f2a01a0
	v_fmac_f64_e32 v[36:37], v[18:19], v[34:35]
	v_mov_b32_e32 v34, 0x1852b7b0
	v_mov_b32_e32 v35, 0x3f56c16c
	v_fmac_f64_e32 v[34:35], v[18:19], v[36:37]
	v_mov_b32_e32 v36, 0x11122322
	v_mov_b32_e32 v37, 0x3f811111
	v_fmac_f64_e32 v[36:37], v[18:19], v[34:35]
	v_mov_b32_e32 v34, 0x555502a1
	v_mov_b32_e32 v35, 0x3fa55555
	v_fmac_f64_e32 v[34:35], v[18:19], v[36:37]
	v_mov_b32_e32 v36, 0x55555511
	v_mov_b32_e32 v37, 0x3fc55555
	v_fmac_f64_e32 v[36:37], v[18:19], v[34:35]
	v_mov_b32_e32 v34, 11
	v_mov_b32_e32 v35, 0x3fe00000
	v_fmac_f64_e32 v[34:35], v[18:19], v[36:37]
	s_mov_b32 s2, 0
	v_fma_f64 v[34:35], v[18:19], v[34:35], 1.0
	s_mov_b32 s3, 0x40900000
	v_fma_f64 v[18:19], v[18:19], v[34:35], 1.0
	v_cvt_i32_f64_e32 v0, v[14:15]
	v_cmp_nlt_f64_e32 vcc, s[2:3], v[8:9]
	s_mov_b32 s2, 0
	v_ldexp_f64 v[14:15], v[18:19], v0
	s_mov_b32 s3, 0xc090cc00
	v_add_f64 v[14:15], v[14:15], -1.0
	v_mov_b32_e32 v0, 0x7ff00000
	v_cmp_ngt_f64_e64 s[2:3], s[2:3], v[8:9]
	v_cndmask_b32_e32 v0, v0, v15, vcc
	v_mov_b32_e32 v1, 0xbff00000
	s_and_b64 vcc, s[2:3], vcc
	v_cndmask_b32_e64 v9, v1, v0, s[2:3]
	v_cndmask_b32_e32 v8, 0, v14, vcc
	v_mul_f64 v[6:7], v[8:9], v[6:7]
	v_div_scale_f64 v[8:9], s[2:3], v[10:11], v[10:11], v[6:7]
	v_rcp_f64_e32 v[14:15], v[8:9]
	s_nop 0
	v_fma_f64 v[18:19], -v[8:9], v[14:15], 1.0
	v_fmac_f64_e32 v[14:15], v[14:15], v[18:19]
	v_fma_f64 v[18:19], -v[8:9], v[14:15], 1.0
	v_fmac_f64_e32 v[14:15], v[14:15], v[18:19]
	v_div_scale_f64 v[18:19], vcc, v[6:7], v[10:11], v[6:7]
	v_mul_f64 v[34:35], v[18:19], v[14:15]
	v_fma_f64 v[8:9], -v[8:9], v[34:35], v[18:19]
	s_nop 1
	v_div_fmas_f64 v[8:9], v[8:9], v[14:15], v[34:35]
	v_div_fixup_f64 v[124:125], v[8:9], v[10:11], v[6:7]
.LBB0_77:
	s_or_b64 exec, exec, s[4:5]
	scratch_load_dwordx2 v[60:61], off, off offset:32 ; 8-byte Folded Reload
	scratch_load_dwordx2 v[24:25], off, off offset:112 ; 8-byte Folded Reload
	;; [unrolled: 1-line block ×3, first 2 shown]
	s_mov_b32 s38, 0x55555555
	s_mov_b32 s39, 0x3fe55555
	;; [unrolled: 1-line block ×18, first 2 shown]
	s_movk_i32 s33, 0x204
	s_mov_b32 s4, 0x652b82fe
	s_mov_b32 s5, 0x3ff71547
	;; [unrolled: 1-line block ×6, first 2 shown]
	v_mul_f64 v[52:53], v[52:53], v[42:43]
	s_waitcnt vmcnt(2)
	v_div_scale_f64 v[6:7], s[2:3], v[60:61], v[60:61], v[82:83]
	v_rcp_f64_e32 v[8:9], v[6:7]
	s_mov_b32 s2, 0x6b47b09a
	s_mov_b32 s3, 0x3fc38538
	v_fma_f64 v[10:11], -v[6:7], v[8:9], 1.0
	v_fmac_f64_e32 v[8:9], v[8:9], v[10:11]
	v_fma_f64 v[10:11], -v[6:7], v[8:9], 1.0
	v_fmac_f64_e32 v[8:9], v[8:9], v[10:11]
	v_div_scale_f64 v[10:11], vcc, v[82:83], v[60:61], v[82:83]
	v_mul_f64 v[14:15], v[10:11], v[8:9]
	v_fma_f64 v[6:7], -v[6:7], v[14:15], v[10:11]
	s_nop 1
	v_div_fmas_f64 v[6:7], v[6:7], v[8:9], v[14:15]
	v_div_fixup_f64 v[8:9], v[6:7], v[60:61], v[82:83]
	v_frexp_mant_f64_e32 v[6:7], v[8:9]
	v_cmp_gt_f64_e32 vcc, s[38:39], v[6:7]
	s_nop 1
	v_cndmask_b32_e64 v0, 0, 1, vcc
	v_ldexp_f64 v[6:7], v[6:7], v0
	v_add_f64 v[10:11], v[6:7], 1.0
	v_rcp_f64_e32 v[14:15], v[10:11]
	v_frexp_exp_i32_f64_e32 v0, v[8:9]
	v_subbrev_co_u32_e32 v0, vcc, 0, v0, vcc
	v_fma_f64 v[18:19], -v[10:11], v[14:15], 1.0
	v_fmac_f64_e32 v[14:15], v[18:19], v[14:15]
	v_fma_f64 v[18:19], -v[10:11], v[14:15], 1.0
	v_fmac_f64_e32 v[14:15], v[18:19], v[14:15]
	v_add_f64 v[18:19], v[10:11], -1.0
	v_add_f64 v[18:19], v[6:7], -v[18:19]
	v_add_f64 v[6:7], v[6:7], -1.0
	v_mul_f64 v[34:35], v[6:7], v[14:15]
	v_mul_f64 v[36:37], v[10:11], v[34:35]
	v_fma_f64 v[10:11], v[34:35], v[10:11], -v[36:37]
	v_fmac_f64_e32 v[10:11], v[34:35], v[18:19]
	v_add_f64 v[18:19], v[36:37], v[10:11]
	v_add_f64 v[44:45], v[6:7], -v[18:19]
	v_add_f64 v[36:37], v[18:19], -v[36:37]
	;; [unrolled: 1-line block ×5, first 2 shown]
	v_add_f64 v[6:7], v[10:11], v[6:7]
	v_add_f64 v[6:7], v[44:45], v[6:7]
	v_mul_f64 v[6:7], v[14:15], v[6:7]
	v_add_f64 v[10:11], v[34:35], v[6:7]
	v_add_f64 v[14:15], v[10:11], -v[34:35]
	v_add_f64 v[14:15], v[6:7], -v[14:15]
	v_mul_f64 v[18:19], v[10:11], v[10:11]
	v_mov_b64_e32 v[6:7], s[2:3]
	v_fma_f64 v[34:35], s[40:41], v[18:19], v[6:7]
	v_fma_f64 v[34:35], v[18:19], v[34:35], s[42:43]
	;; [unrolled: 1-line block ×6, first 2 shown]
	v_mul_f64 v[18:19], v[10:11], v[18:19]
	v_mul_f64 v[18:19], v[18:19], v[34:35]
	v_ldexp_f64 v[10:11], v[10:11], 1
	v_add_f64 v[34:35], v[10:11], v[18:19]
	v_add_f64 v[10:11], v[34:35], -v[10:11]
	v_add_f64 v[10:11], v[18:19], -v[10:11]
	v_ldexp_f64 v[14:15], v[14:15], 1
	v_add_f64 v[10:11], v[14:15], v[10:11]
	v_add_f64 v[14:15], v[34:35], v[10:11]
	v_add_f64 v[18:19], v[14:15], -v[34:35]
	v_add_f64 v[10:11], v[10:11], -v[18:19]
	v_cvt_f64_i32_e32 v[18:19], v0
	v_mul_f64 v[34:35], v[18:19], s[54:55]
	v_fma_f64 v[36:37], v[18:19], s[54:55], -v[34:35]
	v_fmac_f64_e32 v[36:37], s[52:53], v[18:19]
	v_add_f64 v[18:19], v[34:35], v[36:37]
	v_add_f64 v[34:35], v[18:19], -v[34:35]
	v_add_f64 v[34:35], v[36:37], -v[34:35]
	v_add_f64 v[36:37], v[18:19], v[14:15]
	v_add_f64 v[44:45], v[36:37], -v[18:19]
	v_add_f64 v[48:49], v[36:37], -v[44:45]
	;; [unrolled: 1-line block ×4, first 2 shown]
	v_add_f64 v[14:15], v[14:15], v[18:19]
	v_add_f64 v[18:19], v[34:35], v[10:11]
	v_add_f64 v[44:45], v[18:19], -v[34:35]
	v_add_f64 v[48:49], v[18:19], -v[44:45]
	v_add_f64 v[14:15], v[18:19], v[14:15]
	v_add_f64 v[34:35], v[34:35], -v[48:49]
	v_add_f64 v[10:11], v[10:11], -v[44:45]
	v_add_f64 v[18:19], v[36:37], v[14:15]
	v_add_f64 v[10:11], v[10:11], v[34:35]
	v_add_f64 v[34:35], v[18:19], -v[36:37]
	v_add_f64 v[14:15], v[14:15], -v[34:35]
	v_add_f64 v[10:11], v[10:11], v[14:15]
	v_add_f64 v[10:11], v[18:19], v[10:11]
	v_cmp_class_f64_e64 vcc, v[8:9], s33
	v_cmp_nge_f64_e64 s[2:3], 0, v[8:9]
	s_nop 0
	v_cndmask_b32_e32 v0, v10, v8, vcc
	v_cndmask_b32_e32 v1, v11, v9, vcc
	v_mov_b32_e32 v11, 0x7ff80000
	v_cmp_ngt_f64_e32 vcc, 0, v[8:9]
	v_mov_b32_e32 v10, 0xfff00000
	s_nop 0
	v_cndmask_b32_e32 v1, v11, v1, vcc
	v_cmp_neq_f64_e32 vcc, 0, v[8:9]
	v_cndmask_b32_e64 v8, 0, v0, s[2:3]
	s_nop 0
	v_cndmask_b32_e32 v9, v10, v1, vcc
	v_mul_f64 v[8:9], v[28:29], v[8:9]
	v_div_scale_f64 v[14:15], s[2:3], v[42:43], v[42:43], v[8:9]
	v_rcp_f64_e32 v[18:19], v[14:15]
	s_mov_b32 s2, 0x41ed2a05
	s_mov_b32 s3, 0xbfc56799
	v_fma_f64 v[34:35], -v[14:15], v[18:19], 1.0
	v_fmac_f64_e32 v[18:19], v[18:19], v[34:35]
	v_fma_f64 v[34:35], -v[14:15], v[18:19], 1.0
	v_fmac_f64_e32 v[18:19], v[18:19], v[34:35]
	v_div_scale_f64 v[34:35], vcc, v[8:9], v[42:43], v[8:9]
	v_mul_f64 v[36:37], v[34:35], v[18:19]
	v_fma_f64 v[14:15], -v[14:15], v[36:37], v[34:35]
	s_nop 1
	v_div_fmas_f64 v[14:15], v[14:15], v[18:19], v[36:37]
	v_div_fixup_f64 v[120:121], v[14:15], v[42:43], v[8:9]
	v_mul_f64 v[14:15], v[4:5], s[2:3]
	v_mul_f64 v[8:9], v[14:15], s[4:5]
	v_rndne_f64_e32 v[8:9], v[8:9]
	s_mov_b32 s2, 0xfca7ab0c
	v_fma_f64 v[34:35], s[6:7], v[8:9], v[14:15]
	s_mov_b32 s3, 0x3e928af3
	v_fmac_f64_e32 v[34:35], s[8:9], v[8:9]
	v_mov_b64_e32 v[18:19], s[2:3]
	v_fma_f64 v[36:37], s[14:15], v[34:35], v[18:19]
	v_fma_f64 v[36:37], v[34:35], v[36:37], s[16:17]
	;; [unrolled: 1-line block ×9, first 2 shown]
	v_fma_f64 v[36:37], v[34:35], v[36:37], 1.0
	v_fma_f64 v[34:35], v[34:35], v[36:37], 1.0
	v_cvt_i32_f64_e32 v0, v[8:9]
	v_ldexp_f64 v[34:35], v[34:35], v0
	v_mov_b32_e32 v8, 0x7ff00000
	v_cmp_nlt_f64_e32 vcc, s[34:35], v[14:15]
	v_cmp_ngt_f64_e64 s[2:3], s[36:37], v[14:15]
	v_add_f64 v[122:123], v[4:5], -v[120:121]
	v_cndmask_b32_e32 v0, v8, v35, vcc
	v_cndmask_b32_e64 v59, 0, v0, s[2:3]
	scratch_load_dwordx2 v[0:1], off, off offset:200 ; 8-byte Folded Reload
	s_and_b64 vcc, s[2:3], vcc
	s_mov_b32 s2, 0xe01dcc3
	v_cndmask_b32_e32 v58, 0, v34, vcc
	s_mov_b32 s3, 0x405059ef
	s_waitcnt vmcnt(2)
	v_mul_f64 v[126:127], v[24:25], v[122:123]
	v_fma_f64 v[114:115], v[58:59], s[2:3], 1.0
	v_div_scale_f64 v[14:15], s[2:3], v[114:115], v[114:115], v[126:127]
	v_rcp_f64_e32 v[34:35], v[14:15]
	s_nop 0
	v_fma_f64 v[36:37], -v[14:15], v[34:35], 1.0
	v_fmac_f64_e32 v[34:35], v[34:35], v[36:37]
	v_fma_f64 v[36:37], -v[14:15], v[34:35], 1.0
	v_fmac_f64_e32 v[34:35], v[34:35], v[36:37]
	v_div_scale_f64 v[36:37], vcc, v[126:127], v[114:115], v[126:127]
	v_mul_f64 v[44:45], v[36:37], v[34:35]
	v_fma_f64 v[14:15], -v[14:15], v[44:45], v[36:37]
	s_nop 1
	v_div_fmas_f64 v[14:15], v[14:15], v[34:35], v[44:45]
	s_waitcnt vmcnt(0)
	v_fma_f64 v[34:35], v[0:1], v[88:89], v[82:83]
	v_fma_f64 v[88:89], v[46:47], v[0:1], v[60:61]
	v_div_scale_f64 v[36:37], s[2:3], v[88:89], v[88:89], v[34:35]
	v_rcp_f64_e32 v[44:45], v[36:37]
	s_nop 0
	v_fma_f64 v[48:49], -v[36:37], v[44:45], 1.0
	v_fmac_f64_e32 v[44:45], v[44:45], v[48:49]
	v_fma_f64 v[48:49], -v[36:37], v[44:45], 1.0
	v_fmac_f64_e32 v[44:45], v[44:45], v[48:49]
	v_div_scale_f64 v[48:49], vcc, v[34:35], v[88:89], v[34:35]
	v_mul_f64 v[60:61], v[48:49], v[44:45]
	v_fma_f64 v[36:37], -v[36:37], v[60:61], v[48:49]
	s_nop 1
	v_div_fmas_f64 v[36:37], v[36:37], v[44:45], v[60:61]
	v_div_fixup_f64 v[34:35], v[36:37], v[88:89], v[34:35]
	v_frexp_mant_f64_e32 v[36:37], v[34:35]
	v_cmp_gt_f64_e32 vcc, s[38:39], v[36:37]
	v_frexp_exp_i32_f64_e32 v9, v[34:35]
	v_cmp_neq_f64_e64 s[2:3], 0, v[34:35]
	v_cndmask_b32_e64 v0, 0, 1, vcc
	v_ldexp_f64 v[36:37], v[36:37], v0
	v_add_f64 v[44:45], v[36:37], 1.0
	v_rcp_f64_e32 v[48:49], v[44:45]
	v_subbrev_co_u32_e32 v9, vcc, 0, v9, vcc
	v_cmp_class_f64_e64 vcc, v[34:35], s33
	v_fma_f64 v[60:61], -v[44:45], v[48:49], 1.0
	v_fmac_f64_e32 v[48:49], v[60:61], v[48:49]
	v_fma_f64 v[60:61], -v[44:45], v[48:49], 1.0
	v_fmac_f64_e32 v[48:49], v[60:61], v[48:49]
	v_add_f64 v[60:61], v[44:45], -1.0
	v_add_f64 v[60:61], v[36:37], -v[60:61]
	v_add_f64 v[36:37], v[36:37], -1.0
	v_mul_f64 v[62:63], v[36:37], v[48:49]
	v_mul_f64 v[76:77], v[44:45], v[62:63]
	v_fma_f64 v[44:45], v[62:63], v[44:45], -v[76:77]
	v_fmac_f64_e32 v[44:45], v[62:63], v[60:61]
	v_add_f64 v[60:61], v[76:77], v[44:45]
	v_add_f64 v[0:1], v[36:37], -v[60:61]
	v_add_f64 v[76:77], v[60:61], -v[76:77]
	;; [unrolled: 1-line block ×5, first 2 shown]
	v_add_f64 v[36:37], v[44:45], v[36:37]
	v_add_f64 v[0:1], v[0:1], v[36:37]
	v_mul_f64 v[0:1], v[48:49], v[0:1]
	v_add_f64 v[36:37], v[62:63], v[0:1]
	v_add_f64 v[44:45], v[36:37], -v[62:63]
	v_add_f64 v[0:1], v[0:1], -v[44:45]
	v_mul_f64 v[44:45], v[36:37], v[36:37]
	v_fmac_f64_e32 v[6:7], s[40:41], v[44:45]
	v_fma_f64 v[6:7], v[44:45], v[6:7], s[42:43]
	v_fma_f64 v[6:7], v[44:45], v[6:7], s[44:45]
	v_fma_f64 v[6:7], v[44:45], v[6:7], s[46:47]
	v_fma_f64 v[6:7], v[44:45], v[6:7], s[48:49]
	v_fma_f64 v[6:7], v[44:45], v[6:7], s[50:51]
	v_mul_f64 v[44:45], v[36:37], v[44:45]
	v_mul_f64 v[6:7], v[44:45], v[6:7]
	v_ldexp_f64 v[36:37], v[36:37], 1
	v_add_f64 v[44:45], v[36:37], v[6:7]
	v_add_f64 v[36:37], v[44:45], -v[36:37]
	v_add_f64 v[6:7], v[6:7], -v[36:37]
	v_ldexp_f64 v[0:1], v[0:1], 1
	v_add_f64 v[0:1], v[0:1], v[6:7]
	v_add_f64 v[6:7], v[44:45], v[0:1]
	v_add_f64 v[36:37], v[6:7], -v[44:45]
	v_add_f64 v[0:1], v[0:1], -v[36:37]
	v_cvt_f64_i32_e32 v[36:37], v9
	v_mul_f64 v[44:45], v[36:37], s[54:55]
	v_fma_f64 v[48:49], v[36:37], s[54:55], -v[44:45]
	v_fmac_f64_e32 v[48:49], s[52:53], v[36:37]
	v_add_f64 v[36:37], v[44:45], v[48:49]
	v_add_f64 v[44:45], v[36:37], -v[44:45]
	v_add_f64 v[44:45], v[48:49], -v[44:45]
	v_add_f64 v[48:49], v[36:37], v[6:7]
	v_add_f64 v[60:61], v[48:49], -v[36:37]
	v_add_f64 v[62:63], v[48:49], -v[60:61]
	v_add_f64 v[36:37], v[36:37], -v[62:63]
	v_add_f64 v[6:7], v[6:7], -v[60:61]
	v_add_f64 v[6:7], v[6:7], v[36:37]
	v_add_f64 v[36:37], v[44:45], v[0:1]
	v_add_f64 v[60:61], v[36:37], -v[44:45]
	v_add_f64 v[62:63], v[36:37], -v[60:61]
	v_add_f64 v[6:7], v[36:37], v[6:7]
	v_add_f64 v[44:45], v[44:45], -v[62:63]
	v_add_f64 v[0:1], v[0:1], -v[60:61]
	v_add_f64 v[36:37], v[48:49], v[6:7]
	v_add_f64 v[0:1], v[0:1], v[44:45]
	v_add_f64 v[44:45], v[36:37], -v[48:49]
	v_add_f64 v[6:7], v[6:7], -v[44:45]
	v_add_f64 v[0:1], v[0:1], v[6:7]
	v_add_f64 v[0:1], v[36:37], v[0:1]
	v_cndmask_b32_e32 v0, v0, v34, vcc
	v_cndmask_b32_e32 v1, v1, v35, vcc
	v_cmp_ngt_f64_e32 vcc, 0, v[34:35]
	s_mov_b32 s38, 0x9999999a
	s_mov_b32 s39, 0x3fb99999
	v_cndmask_b32_e32 v1, v11, v1, vcc
	v_cmp_nge_f64_e32 vcc, 0, v[34:35]
	v_cndmask_b32_e64 v1, v10, v1, s[2:3]
	s_nop 0
	v_cndmask_b32_e32 v0, 0, v0, vcc
	v_mul_f64 v[36:37], v[28:29], v[0:1]
	v_div_scale_f64 v[0:1], s[2:3], v[42:43], v[42:43], v[36:37]
	v_rcp_f64_e32 v[6:7], v[0:1]
	s_mov_b32 s2, 0xeb851eb8
	s_mov_b32 s3, 0x3faeb851
	v_fma_f64 v[10:11], -v[0:1], v[6:7], 1.0
	v_fmac_f64_e32 v[6:7], v[6:7], v[10:11]
	v_fma_f64 v[10:11], -v[0:1], v[6:7], 1.0
	v_fmac_f64_e32 v[6:7], v[6:7], v[10:11]
	v_div_scale_f64 v[10:11], vcc, v[36:37], v[42:43], v[36:37]
	v_mul_f64 v[34:35], v[10:11], v[6:7]
	v_fma_f64 v[0:1], -v[0:1], v[34:35], v[10:11]
	s_nop 1
	v_div_fmas_f64 v[60:61], v[0:1], v[6:7], v[34:35]
	v_mul_f64 v[0:1], v[120:121], s[2:3]
	v_fma_f64 v[0:1], v[4:5], s[2:3], -v[0:1]
	v_mul_f64 v[6:7], v[0:1], s[4:5]
	v_rndne_f64_e32 v[6:7], v[6:7]
	v_fma_f64 v[10:11], s[6:7], v[6:7], v[0:1]
	v_fmac_f64_e32 v[10:11], s[8:9], v[6:7]
	v_fma_f64 v[34:35], s[14:15], v[10:11], v[18:19]
	v_fma_f64 v[34:35], v[10:11], v[34:35], s[16:17]
	;; [unrolled: 1-line block ×9, first 2 shown]
	v_fma_f64 v[34:35], v[10:11], v[34:35], 1.0
	v_fma_f64 v[10:11], v[10:11], v[34:35], 1.0
	v_cvt_i32_f64_e32 v6, v[6:7]
	v_ldexp_f64 v[6:7], v[10:11], v6
	v_cmp_nlt_f64_e32 vcc, s[34:35], v[0:1]
	v_cmp_ngt_f64_e64 s[2:3], s[36:37], v[0:1]
	s_nop 0
	v_cndmask_b32_e32 v7, v8, v7, vcc
	v_cndmask_b32_e64 v77, 0, v7, s[2:3]
	s_and_b64 vcc, s[2:3], vcc
	s_mov_b32 s2, 0x3b43bc8b
	v_cndmask_b32_e32 v76, 0, v6, vcc
	s_mov_b32 s3, 0x3ed9c54c
	v_fma_f64 v[44:45], v[76:77], s[2:3], 1.0
	v_div_scale_f64 v[0:1], s[2:3], v[44:45], v[44:45], s[38:39]
	v_rcp_f64_e32 v[6:7], v[0:1]
	s_nop 0
	v_fma_f64 v[10:11], -v[0:1], v[6:7], 1.0
	v_fmac_f64_e32 v[6:7], v[6:7], v[10:11]
	v_fma_f64 v[10:11], -v[0:1], v[6:7], 1.0
	v_fmac_f64_e32 v[6:7], v[6:7], v[10:11]
	v_div_scale_f64 v[10:11], vcc, s[38:39], v[44:45], s[38:39]
	v_mul_f64 v[34:35], v[10:11], v[6:7]
	v_fma_f64 v[0:1], -v[0:1], v[34:35], v[10:11]
	s_nop 1
	v_div_fmas_f64 v[6:7], v[0:1], v[6:7], v[34:35]
	v_mul_f64 v[0:1], v[120:121], s[38:39]
	v_fma_f64 v[0:1], v[4:5], s[38:39], -v[0:1]
	v_mul_f64 v[10:11], v[0:1], s[4:5]
	v_rndne_f64_e32 v[10:11], v[10:11]
	v_fma_f64 v[34:35], s[6:7], v[10:11], v[0:1]
	v_fmac_f64_e32 v[34:35], s[8:9], v[10:11]
	v_fma_f64 v[48:49], s[14:15], v[34:35], v[18:19]
	v_fma_f64 v[48:49], v[34:35], v[48:49], s[16:17]
	;; [unrolled: 1-line block ×9, first 2 shown]
	v_fma_f64 v[48:49], v[34:35], v[48:49], 1.0
	v_fma_f64 v[34:35], v[34:35], v[48:49], 1.0
	v_cvt_i32_f64_e32 v9, v[10:11]
	v_ldexp_f64 v[10:11], v[34:35], v9
	v_cmp_nlt_f64_e32 vcc, s[34:35], v[0:1]
	v_cmp_ngt_f64_e64 s[2:3], s[36:37], v[0:1]
	s_nop 0
	v_cndmask_b32_e32 v9, v8, v11, vcc
	v_cndmask_b32_e64 v63, 0, v9, s[2:3]
	s_and_b64 vcc, s[2:3], vcc
	s_mov_b32 s2, 0xeb1c432d
	s_mov_b32 s3, 0x3f2a36e2
	v_mul_f64 v[0:1], v[120:121], s[2:3]
	v_fma_f64 v[0:1], v[4:5], s[2:3], -v[0:1]
	v_cndmask_b32_e32 v62, 0, v10, vcc
	v_mul_f64 v[10:11], v[0:1], s[4:5]
	v_rndne_f64_e32 v[10:11], v[10:11]
	v_fma_f64 v[34:35], s[6:7], v[10:11], v[0:1]
	v_fmac_f64_e32 v[34:35], s[8:9], v[10:11]
	v_fma_f64 v[48:49], s[14:15], v[34:35], v[18:19]
	v_fma_f64 v[48:49], v[34:35], v[48:49], s[16:17]
	;; [unrolled: 1-line block ×9, first 2 shown]
	v_fma_f64 v[48:49], v[34:35], v[48:49], 1.0
	v_cmp_nlt_f64_e32 vcc, s[34:35], v[0:1]
	v_cmp_ngt_f64_e64 s[2:3], s[36:37], v[0:1]
	v_mul_f64 v[0:1], v[4:5], 0.5
	v_fma_f64 v[34:35], v[34:35], v[48:49], 1.0
	v_cvt_i32_f64_e32 v9, v[10:11]
	v_fma_f64 v[0:1], v[120:121], 0.5, -v[0:1]
	v_ldexp_f64 v[10:11], v[34:35], v9
	v_mul_f64 v[34:35], v[0:1], s[4:5]
	v_rndne_f64_e32 v[34:35], v[34:35]
	v_fma_f64 v[48:49], s[6:7], v[34:35], v[0:1]
	v_fmac_f64_e32 v[48:49], s[8:9], v[34:35]
	v_fmac_f64_e32 v[18:19], s[14:15], v[48:49]
	v_fma_f64 v[18:19], v[48:49], v[18:19], s[16:17]
	v_fma_f64 v[18:19], v[48:49], v[18:19], s[18:19]
	;; [unrolled: 1-line block ×8, first 2 shown]
	v_cndmask_b32_e32 v9, v8, v11, vcc
	v_fma_f64 v[18:19], v[48:49], v[18:19], 1.0
	v_cndmask_b32_e64 v11, 0, v9, s[2:3]
	s_and_b64 vcc, s[2:3], vcc
	v_fma_f64 v[18:19], v[48:49], v[18:19], 1.0
	v_cvt_i32_f64_e32 v9, v[34:35]
	v_cndmask_b32_e32 v10, 0, v10, vcc
	v_ldexp_f64 v[18:19], v[18:19], v9
	v_cmp_nlt_f64_e32 vcc, s[34:35], v[0:1]
	v_cmp_ngt_f64_e64 s[2:3], s[36:37], v[0:1]
	s_mov_b32 s4, 0x362cef32
	v_cndmask_b32_e32 v8, v8, v19, vcc
	v_cndmask_b32_e64 v9, 0, v8, s[2:3]
	s_and_b64 vcc, s[2:3], vcc
	s_mov_b32 s2, 0xf5e201d1
	s_mov_b32 s3, 0x40087c1d
	v_cndmask_b32_e32 v8, 0, v18, vcc
	s_mov_b32 s5, 0x3fd78b56
	v_mul_f64 v[34:35], v[10:11], s[2:3]
	v_fmac_f64_e32 v[34:35], s[4:5], v[62:63]
	v_add_f64 v[120:121], v[8:9], 1.0
	v_div_scale_f64 v[0:1], s[2:3], v[120:121], v[120:121], v[34:35]
	v_rcp_f64_e32 v[18:19], v[0:1]
	s_mov_b32 s8, 0x54aa4deb
	s_mov_b32 s9, 0x4025dfe9
	v_fma_f64 v[48:49], -v[0:1], v[18:19], 1.0
	v_fmac_f64_e32 v[18:19], v[18:19], v[48:49]
	v_fma_f64 v[48:49], -v[0:1], v[18:19], 1.0
	v_fmac_f64_e32 v[18:19], v[18:19], v[48:49]
	v_div_scale_f64 v[48:49], vcc, v[34:35], v[120:121], v[34:35]
	v_mul_f64 v[78:79], v[48:49], v[18:19]
	v_fma_f64 v[0:1], -v[0:1], v[78:79], v[48:49]
	v_div_fixup_f64 v[48:49], v[6:7], v[44:45], s[38:39]
	s_nop 0
	v_div_fmas_f64 v[0:1], v[0:1], v[18:19], v[78:79]
	v_div_fixup_f64 v[0:1], v[0:1], v[120:121], v[34:35]
	v_add_f64 v[18:19], v[48:49], v[0:1]
	v_div_scale_f64 v[0:1], s[2:3], v[18:19], v[18:19], v[48:49]
	v_rcp_f64_e32 v[6:7], v[0:1]
	s_mov_b32 s2, 0
	s_brev_b32 s3, 8
	v_mul_f64 v[44:45], v[44:45], v[44:45]
	v_fma_f64 v[78:79], -v[0:1], v[6:7], 1.0
	v_fmac_f64_e32 v[6:7], v[6:7], v[78:79]
	v_fma_f64 v[78:79], -v[0:1], v[6:7], 1.0
	v_fmac_f64_e32 v[6:7], v[6:7], v[78:79]
	v_div_scale_f64 v[78:79], vcc, v[48:49], v[18:19], v[48:49]
	v_mul_f64 v[84:85], v[78:79], v[6:7]
	v_fma_f64 v[0:1], -v[0:1], v[84:85], v[78:79]
	v_mul_f64 v[34:35], v[34:35], 0.5
	s_nop 0
	v_div_fmas_f64 v[6:7], v[0:1], v[6:7], v[84:85]
	v_mov_b32_e32 v0, 0x100
	v_cmp_gt_f64_e32 vcc, s[2:3], v[82:83]
	v_mul_f64 v[8:9], v[8:9], v[34:35]
	v_mul_f64 v[34:35], v[120:121], v[120:121]
	v_cndmask_b32_e32 v0, 0, v0, vcc
	v_ldexp_f64 v[0:1], v[82:83], v0
	v_rsq_f64_e32 v[78:79], v[0:1]
	s_nop 0
	v_mul_f64 v[82:83], v[0:1], v[78:79]
	v_mul_f64 v[78:79], v[78:79], 0.5
	v_fma_f64 v[84:85], -v[78:79], v[82:83], 0.5
	v_fmac_f64_e32 v[82:83], v[82:83], v[84:85]
	v_fmac_f64_e32 v[78:79], v[78:79], v[84:85]
	v_fma_f64 v[84:85], -v[82:83], v[82:83], v[0:1]
	v_fmac_f64_e32 v[82:83], v[84:85], v[78:79]
	v_fma_f64 v[84:85], -v[82:83], v[82:83], v[0:1]
	v_fmac_f64_e32 v[82:83], v[84:85], v[78:79]
	v_mov_b32_e32 v78, 0xffffff80
	v_cndmask_b32_e32 v78, 0, v78, vcc
	v_ldexp_f64 v[78:79], v[82:83], v78
	v_mov_b32_e32 v82, 0x260
	v_cmp_class_f64_e32 vcc, v[0:1], v82
	s_nop 1
	v_cndmask_b32_e32 v83, v79, v1, vcc
	v_cndmask_b32_e32 v82, v78, v0, vcc
	v_add_f64 v[0:1], v[46:47], v[124:125]
	global_store_dwordx2 v[40:41], v[0:1], off
	scratch_load_dwordx2 v[40:41], off, off offset:232 ; 8-byte Folded Reload
	s_waitcnt vmcnt(0)
	v_div_scale_f64 v[0:1], s[2:3], v[40:41], v[40:41], s[10:11]
	v_rcp_f64_e32 v[78:79], v[0:1]
	s_mov_b32 s2, 0x85944719
	s_mov_b32 s3, 0x3e63cab9
	v_fma_f64 v[84:85], -v[0:1], v[78:79], 1.0
	v_fmac_f64_e32 v[78:79], v[78:79], v[84:85]
	v_fma_f64 v[84:85], -v[0:1], v[78:79], 1.0
	v_fmac_f64_e32 v[78:79], v[78:79], v[84:85]
	v_div_scale_f64 v[84:85], vcc, s[10:11], v[40:41], s[10:11]
	v_mul_f64 v[124:125], v[84:85], v[78:79]
	v_fma_f64 v[0:1], -v[0:1], v[124:125], v[84:85]
	s_nop 1
	v_div_fmas_f64 v[0:1], v[0:1], v[78:79], v[124:125]
	v_div_fixup_f64 v[0:1], v[0:1], v[40:41], s[10:11]
	v_floor_f64_e32 v[0:1], v[0:1]
	v_fma_f64 v[0:1], -v[40:41], v[0:1], s[10:11]
	scratch_load_dwordx2 v[40:41], off, off offset:224 ; 8-byte Folded Reload
	scratch_load_dwordx2 v[84:85], off, off offset:240 ; 8-byte Folded Reload
	;; [unrolled: 1-line block ×3, first 2 shown]
	s_waitcnt vmcnt(1)
	v_add_f64 v[78:79], v[40:41], v[84:85]
	scratch_load_dwordx2 v[40:41], off, off offset:120 ; 8-byte Folded Reload
	v_cmp_nle_f64_e64 s[4:5], v[0:1], v[78:79]
	v_cmp_nge_f64_e64 s[6:7], v[0:1], v[84:85]
	v_mul_f64 v[0:1], v[76:77], s[2:3]
	v_div_scale_f64 v[76:77], s[2:3], v[44:45], v[44:45], v[0:1]
	v_rcp_f64_e32 v[78:79], v[76:77]
	s_or_b64 s[4:5], s[4:5], s[6:7]
	v_fma_f64 v[84:85], -v[76:77], v[78:79], 1.0
	v_fmac_f64_e32 v[78:79], v[78:79], v[84:85]
	v_fma_f64 v[84:85], -v[76:77], v[78:79], 1.0
	v_fmac_f64_e32 v[78:79], v[78:79], v[84:85]
	v_div_scale_f64 v[84:85], vcc, v[0:1], v[44:45], v[0:1]
	v_mul_f64 v[124:125], v[84:85], v[78:79]
	v_fma_f64 v[76:77], -v[76:77], v[124:125], v[84:85]
	s_nop 1
	v_div_fmas_f64 v[76:77], v[76:77], v[78:79], v[124:125]
	v_div_fixup_f64 v[76:77], v[76:77], v[44:45], v[0:1]
	v_mul_f64 v[0:1], v[70:71], v[92:93]
	v_mul_f64 v[0:1], v[64:65], v[0:1]
	;; [unrolled: 1-line block ×4, first 2 shown]
	v_div_scale_f64 v[44:45], s[2:3], v[86:87], v[86:87], v[0:1]
	v_rcp_f64_e32 v[78:79], v[44:45]
	s_nop 0
	v_fma_f64 v[84:85], -v[44:45], v[78:79], 1.0
	v_fmac_f64_e32 v[78:79], v[78:79], v[84:85]
	v_fma_f64 v[84:85], -v[44:45], v[78:79], 1.0
	v_fmac_f64_e32 v[78:79], v[78:79], v[84:85]
	v_div_scale_f64 v[84:85], vcc, v[0:1], v[86:87], v[0:1]
	v_mul_f64 v[92:93], v[84:85], v[78:79]
	v_fma_f64 v[44:45], -v[44:45], v[92:93], v[84:85]
	s_nop 1
	v_div_fmas_f64 v[44:45], v[44:45], v[78:79], v[92:93]
	v_div_fixup_f64 v[86:87], v[44:45], v[86:87], v[0:1]
	v_mul_f64 v[0:1], v[42:43], v[30:31]
	scratch_load_dwordx2 v[44:45], off, off offset:64 ; 8-byte Folded Reload
	s_waitcnt vmcnt(1)
	v_ldexp_f64 v[30:31], v[40:41], 3
	v_mul_f64 v[30:31], v[30:31], v[0:1]
	v_mul_f64 v[30:31], v[30:31], v[74:75]
	scratch_load_dwordx2 v[74:75], off, off offset:72 ; 8-byte Folded Reload
	v_mul_f64 v[30:31], v[20:21], v[30:31]
	v_mul_f64 v[30:31], v[70:71], v[30:31]
	;; [unrolled: 1-line block ×6, first 2 shown]
	s_waitcnt vmcnt(1)
	v_mul_f64 v[44:45], v[44:45], v[44:45]
	s_waitcnt vmcnt(0)
	v_mul_f64 v[74:75], v[74:75], v[74:75]
	v_mul_f64 v[44:45], v[44:45], v[74:75]
	;; [unrolled: 1-line block ×4, first 2 shown]
	v_div_scale_f64 v[78:79], s[2:3], v[74:75], v[74:75], v[30:31]
	v_rcp_f64_e32 v[84:85], v[78:79]
	s_nop 0
	v_fma_f64 v[92:93], -v[78:79], v[84:85], 1.0
	v_fmac_f64_e32 v[84:85], v[84:85], v[92:93]
	v_fma_f64 v[92:93], -v[78:79], v[84:85], 1.0
	v_fmac_f64_e32 v[84:85], v[84:85], v[92:93]
	v_div_scale_f64 v[92:93], vcc, v[30:31], v[74:75], v[30:31]
	v_mul_f64 v[124:125], v[92:93], v[84:85]
	v_fma_f64 v[78:79], -v[78:79], v[124:125], v[92:93]
	s_nop 1
	v_div_fmas_f64 v[78:79], v[78:79], v[84:85], v[124:125]
	v_div_fixup_f64 v[74:75], v[78:79], v[74:75], v[30:31]
	v_add_f64 v[30:31], v[40:41], v[40:41]
	v_mul_f64 v[0:1], v[30:31], v[0:1]
	v_mul_f64 v[0:1], v[72:73], v[0:1]
	;; [unrolled: 1-line block ×9, first 2 shown]
	v_div_scale_f64 v[30:31], s[2:3], v[20:21], v[20:21], v[0:1]
	v_rcp_f64_e32 v[32:33], v[30:31]
	scratch_load_dwordx2 v[40:41], off, off offset:144 ; 8-byte Folded Reload
	scratch_load_dwordx2 v[90:91], off, off offset:8 ; 8-byte Folded Reload
	v_fma_f64 v[38:39], -v[30:31], v[32:33], 1.0
	v_fmac_f64_e32 v[32:33], v[32:33], v[38:39]
	v_fma_f64 v[38:39], -v[30:31], v[32:33], 1.0
	v_fmac_f64_e32 v[32:33], v[32:33], v[38:39]
	v_div_scale_f64 v[38:39], vcc, v[0:1], v[20:21], v[0:1]
	v_mul_f64 v[44:45], v[38:39], v[32:33]
	v_fma_f64 v[30:31], -v[30:31], v[44:45], v[38:39]
	v_mul_f64 v[38:39], v[114:115], v[114:115]
	s_nop 0
	v_div_fmas_f64 v[30:31], v[30:31], v[32:33], v[44:45]
	v_div_fixup_f64 v[64:65], v[30:31], v[20:21], v[0:1]
	v_div_scale_f64 v[0:1], s[2:3], v[114:115], v[114:115], v[24:25]
	v_rcp_f64_e32 v[20:21], v[0:1]
	v_div_scale_f64 v[32:33], s[2:3], v[24:25], v[114:115], v[24:25]
	s_mov_b64 vcc, s[2:3]
	v_fma_f64 v[30:31], -v[0:1], v[20:21], 1.0
	v_fmac_f64_e32 v[20:21], v[20:21], v[30:31]
	v_fma_f64 v[30:31], -v[0:1], v[20:21], 1.0
	v_fmac_f64_e32 v[20:21], v[20:21], v[30:31]
	v_mul_f64 v[30:31], v[32:33], v[20:21]
	v_fma_f64 v[32:33], -v[0:1], v[30:31], v[32:33]
	v_mul_f64 v[0:1], v[24:25], s[8:9]
	v_mul_f64 v[0:1], v[0:1], v[122:123]
	;; [unrolled: 1-line block ×3, first 2 shown]
	v_div_scale_f64 v[44:45], s[8:9], v[38:39], v[38:39], v[0:1]
	v_rcp_f64_e32 v[58:59], v[44:45]
	v_div_fmas_f64 v[68:69], v[32:33], v[20:21], v[30:31]
	v_fma_f64 v[66:67], -v[44:45], v[58:59], 1.0
	v_fmac_f64_e32 v[58:59], v[58:59], v[66:67]
	v_fma_f64 v[66:67], -v[44:45], v[58:59], 1.0
	v_fmac_f64_e32 v[58:59], v[58:59], v[66:67]
	v_div_scale_f64 v[66:67], s[8:9], v[0:1], v[38:39], v[0:1]
	v_mul_f64 v[70:71], v[66:67], v[58:59]
	v_fma_f64 v[44:45], -v[44:45], v[70:71], v[66:67]
	s_mov_b64 vcc, s[8:9]
	v_div_fmas_f64 v[44:45], v[44:45], v[58:59], v[70:71]
	v_div_fixup_f64 v[72:73], v[44:45], v[38:39], v[0:1]
	v_mul_f64 v[44:45], v[18:19], v[18:19]
	v_div_scale_f64 v[0:1], s[8:9], v[44:45], v[44:45], -v[48:49]
	v_rcp_f64_e32 v[38:39], v[0:1]
	s_nop 0
	v_fma_f64 v[58:59], -v[0:1], v[38:39], 1.0
	v_fmac_f64_e32 v[38:39], v[38:39], v[58:59]
	v_fma_f64 v[58:59], -v[0:1], v[38:39], 1.0
	v_fmac_f64_e32 v[38:39], v[38:39], v[58:59]
	v_div_scale_f64 v[58:59], vcc, -v[48:49], v[44:45], -v[48:49]
	v_mul_f64 v[66:67], v[58:59], v[38:39]
	v_fma_f64 v[0:1], -v[0:1], v[66:67], v[58:59]
	s_nop 1
	v_div_fmas_f64 v[0:1], v[0:1], v[38:39], v[66:67]
	v_div_scale_f64 v[38:39], s[8:9], v[18:19], v[18:19], 1.0
	v_rcp_f64_e32 v[58:59], v[38:39]
	s_nop 0
	v_fma_f64 v[66:67], -v[38:39], v[58:59], 1.0
	v_fmac_f64_e32 v[58:59], v[58:59], v[66:67]
	v_fma_f64 v[66:67], -v[38:39], v[58:59], 1.0
	v_fmac_f64_e32 v[58:59], v[58:59], v[66:67]
	v_div_scale_f64 v[66:67], vcc, 1.0, v[18:19], 1.0
	v_mul_f64 v[70:71], v[66:67], v[58:59]
	v_fma_f64 v[38:39], -v[38:39], v[70:71], v[66:67]
	s_nop 1
	v_div_fmas_f64 v[92:93], v[38:39], v[58:59], v[70:71]
	v_div_scale_f64 v[38:39], s[8:9], v[44:45], v[44:45], v[48:49]
	v_rcp_f64_e32 v[58:59], v[38:39]
	s_mov_b32 s8, 0x91bd8c28
	s_mov_b32 s9, 0x3fa2d5de
	v_fma_f64 v[66:67], -v[38:39], v[58:59], 1.0
	v_fmac_f64_e32 v[58:59], v[58:59], v[66:67]
	v_fma_f64 v[66:67], -v[38:39], v[58:59], 1.0
	v_fmac_f64_e32 v[58:59], v[58:59], v[66:67]
	v_div_scale_f64 v[66:67], vcc, v[48:49], v[44:45], v[48:49]
	v_mul_f64 v[70:71], v[66:67], v[58:59]
	v_fma_f64 v[38:39], -v[38:39], v[70:71], v[66:67]
	s_nop 1
	v_div_fmas_f64 v[66:67], v[38:39], v[58:59], v[70:71]
	v_mul_f64 v[38:39], v[62:63], s[8:9]
	s_mov_b32 s8, 0x6acf4366
	s_mov_b32 s9, 0x3f440ed7
	v_fma_f64 v[78:79], s[8:9], v[10:11], v[38:39]
	v_div_scale_f64 v[58:59], s[8:9], v[120:121], v[120:121], v[78:79]
	v_rcp_f64_e32 v[62:63], v[58:59]
	s_nop 0
	v_fma_f64 v[70:71], -v[58:59], v[62:63], 1.0
	v_fmac_f64_e32 v[62:63], v[62:63], v[70:71]
	v_fma_f64 v[70:71], -v[58:59], v[62:63], 1.0
	v_fmac_f64_e32 v[62:63], v[62:63], v[70:71]
	v_div_scale_f64 v[70:71], vcc, v[78:79], v[120:121], v[78:79]
	v_mul_f64 v[84:85], v[70:71], v[62:63]
	v_fma_f64 v[58:59], -v[58:59], v[84:85], v[70:71]
	s_nop 1
	v_div_fmas_f64 v[84:85], v[58:59], v[62:63], v[84:85]
	v_div_scale_f64 v[58:59], s[8:9], v[34:35], v[34:35], v[8:9]
	v_rcp_f64_e32 v[62:63], v[58:59]
	s_mov_b32 s8, 0x7318fc50
	s_mov_b32 s9, 0x3fa212d7
	v_fma_f64 v[70:71], -v[58:59], v[62:63], 1.0
	v_fmac_f64_e32 v[62:63], v[62:63], v[70:71]
	v_fma_f64 v[70:71], -v[58:59], v[62:63], 1.0
	v_fmac_f64_e32 v[62:63], v[62:63], v[70:71]
	v_div_scale_f64 v[70:71], vcc, v[8:9], v[34:35], v[8:9]
	v_mul_f64 v[124:125], v[70:71], v[62:63]
	v_fma_f64 v[58:59], -v[58:59], v[124:125], v[70:71]
	s_nop 1
	v_div_fmas_f64 v[58:59], v[58:59], v[62:63], v[124:125]
	v_div_fixup_f64 v[58:59], v[58:59], v[34:35], v[8:9]
	v_mul_f64 v[8:9], v[42:43], s[8:9]
	v_mul_f64 v[110:111], v[8:9], v[110:111]
	v_div_scale_f64 v[8:9], s[8:9], v[28:29], v[28:29], v[110:111]
	v_rcp_f64_e32 v[34:35], v[8:9]
	s_mov_b32 s8, 0xb6ae7d56
	s_mov_b32 s9, 0x3f897f62
	v_fma_f64 v[62:63], -v[8:9], v[34:35], 1.0
	v_fmac_f64_e32 v[34:35], v[34:35], v[62:63]
	v_fma_f64 v[62:63], -v[8:9], v[34:35], 1.0
	v_fmac_f64_e32 v[34:35], v[34:35], v[62:63]
	v_div_scale_f64 v[62:63], vcc, v[110:111], v[28:29], v[110:111]
	v_mul_f64 v[70:71], v[62:63], v[34:35]
	v_fma_f64 v[8:9], -v[8:9], v[70:71], v[62:63]
	s_nop 1
	v_div_fmas_f64 v[124:125], v[8:9], v[34:35], v[70:71]
	v_mul_f64 v[8:9], v[42:43], s[8:9]
	v_mul_f64 v[112:113], v[8:9], v[112:113]
	v_div_scale_f64 v[8:9], s[8:9], v[28:29], v[28:29], v[112:113]
	v_rcp_f64_e32 v[34:35], v[8:9]
	s_mov_b32 s8, 0xf62f0be
	s_mov_b32 s9, 0x3fdb8a8d
	v_fma_f64 v[62:63], -v[8:9], v[34:35], 1.0
	v_fmac_f64_e32 v[34:35], v[34:35], v[62:63]
	v_fma_f64 v[62:63], -v[8:9], v[34:35], 1.0
	v_fmac_f64_e32 v[34:35], v[34:35], v[62:63]
	v_div_scale_f64 v[62:63], vcc, v[112:113], v[28:29], v[112:113]
	v_mul_f64 v[70:71], v[62:63], v[34:35]
	v_fma_f64 v[8:9], -v[8:9], v[70:71], v[62:63]
	v_div_fixup_f64 v[62:63], v[14:15], v[114:115], v[126:127]
	s_nop 0
	v_div_fmas_f64 v[94:95], v[8:9], v[34:35], v[70:71]
	v_div_fixup_f64 v[8:9], v[6:7], v[18:19], v[48:49]
	scratch_load_dwordx2 v[6:7], off, off offset:184 ; 8-byte Folded Reload
	v_div_fixup_f64 v[34:35], v[60:61], v[42:43], v[36:37]
	scratch_load_dwordx2 v[36:37], off, off offset:208 ; 8-byte Folded Reload
	v_div_fixup_f64 v[14:15], v[0:1], v[44:45], -v[48:49]
	v_div_fixup_f64 v[0:1], v[66:67], v[44:45], v[48:49]
	v_add_f64 v[34:35], v[4:5], -v[34:35]
	v_div_fixup_f64 v[18:19], v[92:93], v[18:19], 1.0
	s_waitcnt vmcnt(1)
	v_mul_f64 v[6:7], v[6:7], s[8:9]
	v_mul_f64 v[126:127], v[6:7], v[82:83]
	scratch_load_dwordx2 v[6:7], off, off offset:176 ; 8-byte Folded Reload
	s_waitcnt vmcnt(1)
	v_cndmask_b32_e64 v60, v36, 0, s[4:5]
	s_waitcnt vmcnt(0)
	v_mul_f64 v[6:7], v[6:7], s[8:9]
	v_mul_f64 v[70:71], v[6:7], v[82:83]
	v_xor_b32_e32 v6, 0x80000000, v37
	v_cndmask_b32_e64 v61, v6, 0, s[4:5]
	scratch_load_dwordx2 v[6:7], off, off offset:56 ; 8-byte Folded Reload
	v_mul_f64 v[36:37], v[126:127], v[122:123]
	v_fma_f64 v[2:3], -v[36:37], v[8:9], -v[2:3]
	s_waitcnt vmcnt(0)
	v_mul_f64 v[44:45], v[6:7], v[6:7]
	v_mul_f64 v[6:7], v[70:71], v[122:123]
	;; [unrolled: 1-line block ×3, first 2 shown]
	v_fma_f64 v[6:7], -v[90:91], v[48:49], v[2:3]
	v_mul_f64 v[2:3], v[44:45], v[40:41]
	v_fma_f64 v[6:7], -v[2:3], v[34:35], v[6:7]
	v_add_f64 v[6:7], v[6:7], -v[116:117]
	v_add_f64 v[6:7], v[6:7], -v[22:23]
	scratch_load_dwordx2 v[22:23], off, off offset:424 ; 8-byte Folded Reload
	v_add_f64 v[6:7], v[6:7], -v[26:27]
	v_add_f64 v[6:7], v[6:7], -v[60:61]
	s_waitcnt vmcnt(0)
	v_add_f64 v[6:7], v[6:7], -v[22:23]
	scratch_load_dwordx2 v[22:23], off, off offset:432 ; 8-byte Folded Reload
	v_add_f64 v[6:7], v[6:7], -v[118:119]
	s_waitcnt vmcnt(0)
	v_add_f64 v[6:7], v[6:7], -v[22:23]
	v_add_f64 v[22:23], v[86:87], -v[74:75]
	v_add_f64 v[66:67], v[64:65], v[22:23]
	v_div_fixup_f64 v[22:23], v[68:69], v[114:115], v[24:25]
	scratch_load_dwordx2 v[24:25], off, off offset:168 ; 8-byte Folded Reload
	v_add_f64 v[68:69], v[22:23], v[72:73]
	scratch_load_dwordx2 v[72:73], off, off offset:216 ; 8-byte Folded Reload
	v_add_f64 v[6:7], v[6:7], -v[62:63]
	s_waitcnt vmcnt(1)
	v_mul_f64 v[22:23], v[24:25], v[122:123]
	s_waitcnt vmcnt(0)
	v_mul_f64 v[64:65], v[72:73], v[22:23]
	v_mul_f64 v[24:25], v[72:73], v[24:25]
	v_add_f64 v[22:23], v[18:19], -v[0:1]
	v_div_fixup_f64 v[18:19], v[124:125], v[28:29], v[110:111]
	v_div_fixup_f64 v[72:73], v[94:95], v[28:29], v[112:113]
	v_add_f64 v[18:19], v[18:19], v[72:73]
	v_mul_f64 v[18:19], v[104:105], v[18:19]
	v_mul_f64 v[46:47], v[46:47], v[18:19]
	;; [unrolled: 1-line block ×4, first 2 shown]
	v_div_scale_f64 v[18:19], s[4:5], v[72:73], v[72:73], v[46:47]
	v_rcp_f64_e32 v[74:75], v[18:19]
	v_div_fixup_f64 v[0:1], v[84:85], v[120:121], v[78:79]
	scratch_load_dwordx2 v[94:95], off, off ; 8-byte Folded Reload
	v_fma_f64 v[78:79], -v[18:19], v[74:75], 1.0
	v_fmac_f64_e32 v[74:75], v[74:75], v[78:79]
	v_fma_f64 v[78:79], -v[18:19], v[74:75], 1.0
	v_fmac_f64_e32 v[74:75], v[74:75], v[78:79]
	v_div_scale_f64 v[78:79], vcc, v[46:47], v[72:73], v[46:47]
	v_mul_f64 v[82:83], v[78:79], v[74:75]
	v_fma_f64 v[18:19], -v[18:19], v[82:83], v[78:79]
	scratch_load_dwordx2 v[78:79], off, off offset:160 ; 8-byte Folded Reload
	s_nop 0
	v_div_fmas_f64 v[74:75], v[18:19], v[74:75], v[82:83]
	v_div_fixup_f64 v[46:47], v[74:75], v[72:73], v[46:47]
	s_waitcnt vmcnt(0)
	v_mul_f64 v[52:53], v[78:79], v[52:53]
	v_add_f64 v[78:79], v[0:1], v[58:59]
	scratch_load_dwordx2 v[0:1], off, off offset:384 ; 8-byte Folded Reload
	s_waitcnt vmcnt(0)
	v_mul_f64 v[0:1], v[0:1], v[52:53]
	v_mul_f64 v[84:85], v[0:1], v[102:103]
	v_div_scale_f64 v[52:53], s[4:5], v[28:29], v[28:29], v[84:85]
	v_rcp_f64_e32 v[86:87], v[52:53]
	v_mul_f64 v[0:1], v[126:127], v[8:9]
	v_fma_f64 v[18:19], -v[52:53], v[86:87], 1.0
	v_fmac_f64_e32 v[86:87], v[86:87], v[18:19]
	v_fma_f64 v[18:19], -v[52:53], v[86:87], 1.0
	v_fmac_f64_e32 v[86:87], v[86:87], v[18:19]
	v_div_scale_f64 v[18:19], vcc, v[84:85], v[28:29], v[84:85]
	v_mul_f64 v[82:83], v[18:19], v[86:87]
	v_fma_f64 v[92:93], -v[52:53], v[82:83], v[18:19]
	v_mul_f64 v[18:19], v[76:77], v[22:23]
	v_fma_f64 v[52:53], v[78:79], v[14:15], -v[18:19]
	scratch_load_dwordx2 v[78:79], off, off offset:104 ; 8-byte Folded Reload
	v_div_fmas_f64 v[82:83], v[92:93], v[86:87], v[82:83]
	v_div_fixup_f64 v[82:83], v[82:83], v[28:29], v[84:85]
	v_fma_f64 v[86:87], v[36:37], v[52:53], v[0:1]
	s_waitcnt vmcnt(0)
	v_mul_f64 v[78:79], v[78:79], v[42:43]
	v_mul_f64 v[16:17], v[16:17], v[78:79]
	;; [unrolled: 1-line block ×5, first 2 shown]
	v_div_scale_f64 v[54:55], s[4:5], v[28:29], v[28:29], v[16:17]
	v_rcp_f64_e32 v[78:79], v[54:55]
	s_nop 0
	v_fma_f64 v[84:85], -v[54:55], v[78:79], 1.0
	v_fmac_f64_e32 v[78:79], v[78:79], v[84:85]
	v_fma_f64 v[84:85], -v[54:55], v[78:79], 1.0
	v_fmac_f64_e32 v[78:79], v[78:79], v[84:85]
	v_div_scale_f64 v[84:85], vcc, v[16:17], v[28:29], v[16:17]
	v_mul_f64 v[92:93], v[84:85], v[78:79]
	v_fma_f64 v[54:55], -v[54:55], v[92:93], v[84:85]
	v_mov_b32_e32 v84, 0x3ff00000
	s_nop 0
	v_div_fmas_f64 v[54:55], v[54:55], v[78:79], v[92:93]
	scratch_load_dwordx2 v[92:93], off, off offset:48 ; 8-byte Folded Reload
	v_div_fixup_f64 v[16:17], v[54:55], v[28:29], v[16:17]
	v_add_f64 v[16:17], v[82:83], -v[16:17]
	v_cndmask_b32_e64 v85, v84, 0, s[0:1]
	v_mul_f64 v[54:55], v[96:97], v[70:71]
	v_mov_b32_e32 v84, 0
	v_fma_f64 v[6:7], -v[94:95], v[64:65], v[6:7]
	s_waitcnt vmcnt(0)
	v_mul_f64 v[16:17], v[92:93], v[16:17]
	v_div_scale_f64 v[78:79], s[0:1], v[56:57], v[56:57], v[16:17]
	v_rcp_f64_e32 v[82:83], v[78:79]
	v_mul_f64 v[74:75], v[92:93], v[42:43]
	v_fma_f64 v[70:71], -v[78:79], v[82:83], 1.0
	v_fmac_f64_e32 v[82:83], v[82:83], v[70:71]
	v_fma_f64 v[70:71], -v[78:79], v[82:83], 1.0
	v_fmac_f64_e32 v[82:83], v[82:83], v[70:71]
	v_div_scale_f64 v[70:71], vcc, v[16:17], v[56:57], v[16:17]
	v_mul_f64 v[72:73], v[70:71], v[82:83]
	v_fma_f64 v[70:71], -v[78:79], v[72:73], v[70:71]
	scratch_load_dwordx2 v[78:79], off, off offset:152 ; 8-byte Folded Reload
	s_nop 0
	v_div_fmas_f64 v[70:71], v[70:71], v[82:83], v[72:73]
	v_div_fixup_f64 v[16:17], v[70:71], v[56:57], v[16:17]
	s_waitcnt vmcnt(0)
	v_mul_f64 v[74:75], v[78:79], v[74:75]
	v_mul_f64 v[12:13], v[12:13], v[74:75]
	scratch_load_dwordx2 v[74:75], off, off offset:400 ; 8-byte Folded Reload
	s_waitcnt vmcnt(0)
	v_mul_f64 v[12:13], v[12:13], v[74:75]
	v_mul_f64 v[12:13], v[50:51], v[12:13]
	scratch_load_dwordx2 v[50:51], off, off offset:408 ; 8-byte Folded Reload
	;; [unrolled: 4-line block ×3, first 2 shown]
	s_waitcnt vmcnt(0)
	v_mul_f64 v[28:29], v[50:51], v[28:29]
	scratch_load_dwordx2 v[50:51], off, off offset:416 ; 8-byte Folded Reload
	s_waitcnt vmcnt(0)
	v_mul_f64 v[28:29], v[50:51], v[28:29]
	v_div_scale_f64 v[50:51], s[0:1], v[28:29], v[28:29], v[12:13]
	v_rcp_f64_e32 v[74:75], v[50:51]
	s_mov_b32 s0, 0xe2308c3a
	s_mov_b32 s1, 0x3e45798e
	v_fma_f64 v[56:57], -v[50:51], v[74:75], 1.0
	v_fmac_f64_e32 v[74:75], v[74:75], v[56:57]
	v_fma_f64 v[56:57], -v[50:51], v[74:75], 1.0
	v_fmac_f64_e32 v[74:75], v[74:75], v[56:57]
	v_div_scale_f64 v[56:57], vcc, v[12:13], v[28:29], v[12:13]
	v_mul_f64 v[70:71], v[56:57], v[74:75]
	v_fma_f64 v[50:51], -v[50:51], v[70:71], v[56:57]
	s_nop 1
	v_div_fmas_f64 v[50:51], v[50:51], v[74:75], v[70:71]
	v_div_fixup_f64 v[12:13], v[50:51], v[28:29], v[12:13]
	v_add_f64 v[12:13], v[16:17], -v[12:13]
	scratch_load_dwordx2 v[16:17], off, off offset:40 ; 8-byte Folded Reload
	scratch_load_dwordx2 v[28:29], off, off offset:96 ; 8-byte Folded Reload
	s_waitcnt vmcnt(0)
	v_add_f64 v[16:17], -v[28:29], -v[16:17]
	v_add_f64 v[16:17], v[16:17], -v[86:87]
	v_fma_f64 v[16:17], -v[90:91], v[54:55], v[16:17]
	v_fma_f64 v[16:17], -v[44:45], v[40:41], v[16:17]
	v_add_f64 v[12:13], v[16:17], -v[12:13]
	scratch_load_dwordx2 v[16:17], off, off offset:24 ; 8-byte Folded Reload
	v_add_f64 v[12:13], v[12:13], -v[46:47]
	s_waitcnt vmcnt(0)
	v_fma_f64 v[12:13], -v[16:17], v[98:99], v[12:13]
	v_add_f64 v[12:13], v[12:13], -v[68:69]
	v_fma_f64 v[12:13], -v[94:95], v[24:25], v[12:13]
	v_fma_f64 v[12:13], -v[36:37], v[52:53], v[12:13]
	;; [unrolled: 1-line block ×3, first 2 shown]
	v_cmp_ngt_f64_e64 s[0:1], |v[12:13]|, s[0:1]
                                        ; implicit-def: $vgpr16_vgpr17
	s_and_saveexec_b64 s[4:5], s[0:1]
	s_xor_b64 s[0:1], exec, s[4:5]
; %bb.78:
	v_mul_f64 v[16:17], s[12:13], v[6:7]
                                        ; implicit-def: $vgpr12_vgpr13
                                        ; implicit-def: $vgpr6_vgpr7
; %bb.79:
	s_or_saveexec_b64 s[4:5], s[0:1]
	scratch_load_dwordx2 v[28:29], off, off ; 8-byte Folded Reload
	v_mul_f64 v[44:45], v[36:37], v[8:9]
	scratch_load_dwordx2 v[8:9], off, off offset:8 ; 8-byte Folded Reload
	v_mul_f64 v[34:35], v[2:3], v[34:35]
	s_waitcnt vmcnt(1)
	v_mul_f64 v[28:29], v[28:29], v[64:65]
	s_waitcnt vmcnt(0)
	v_mul_f64 v[46:47], v[8:9], v[48:49]
	v_mul_f64 v[8:9], v[8:9], v[54:55]
	s_xor_b64 exec, exec, s[4:5]
	s_cbranch_execz .LBB0_81
; %bb.80:
	s_mov_b32 s0, 0x652b82fe
	v_mul_f64 v[16:17], s[12:13], v[12:13]
	s_mov_b32 s1, 0x3ff71547
	v_mul_f64 v[48:49], v[16:17], s[0:1]
	s_mov_b32 s0, 0xfefa39ef
	v_rndne_f64_e32 v[48:49], v[48:49]
	s_mov_b32 s1, 0xbfe62e42
	v_fma_f64 v[50:51], s[0:1], v[48:49], v[16:17]
	s_mov_b32 s0, 0x3b39803f
	s_mov_b32 s1, 0xbc7abc9e
	v_fmac_f64_e32 v[50:51], s[0:1], v[48:49]
	s_mov_b32 s0, 0x6a5dcb37
	v_mov_b32_e32 v52, 0xfca7ab0c
	v_mov_b32_e32 v53, 0x3e928af3
	s_mov_b32 s1, 0x3e5ade15
	v_fmac_f64_e32 v[52:53], s[0:1], v[50:51]
	v_mov_b32_e32 v54, 0x623fde64
	v_mov_b32_e32 v55, 0x3ec71dee
	v_fmac_f64_e32 v[54:55], v[50:51], v[52:53]
	v_mov_b32_e32 v52, 0x7c89e6b0
	v_mov_b32_e32 v53, 0x3efa0199
	;; [unrolled: 3-line block ×8, first 2 shown]
	v_fmac_f64_e32 v[52:53], v[50:51], v[54:55]
	s_mov_b32 s0, 0
	v_fma_f64 v[52:53], v[50:51], v[52:53], 1.0
	s_mov_b32 s1, 0x40900000
	v_fma_f64 v[50:51], v[50:51], v[52:53], 1.0
	v_cvt_i32_f64_e32 v48, v[48:49]
	v_cmp_nlt_f64_e32 vcc, s[0:1], v[16:17]
	s_mov_b32 s0, 0
	v_ldexp_f64 v[48:49], v[50:51], v48
	s_mov_b32 s1, 0xc090cc00
	v_add_f64 v[48:49], v[48:49], -1.0
	v_mov_b32_e32 v50, 0x7ff00000
	v_cmp_ngt_f64_e64 s[0:1], s[0:1], v[16:17]
	v_cndmask_b32_e32 v49, v50, v49, vcc
	v_mov_b32_e32 v50, 0xbff00000
	s_and_b64 vcc, s[0:1], vcc
	v_cndmask_b32_e64 v17, v50, v49, s[0:1]
	v_cndmask_b32_e32 v16, 0, v48, vcc
	v_mul_f64 v[6:7], v[6:7], v[16:17]
	v_div_scale_f64 v[16:17], s[0:1], v[12:13], v[12:13], v[6:7]
	v_rcp_f64_e32 v[48:49], v[16:17]
	s_nop 0
	v_fma_f64 v[50:51], -v[16:17], v[48:49], 1.0
	v_fmac_f64_e32 v[48:49], v[48:49], v[50:51]
	v_fma_f64 v[50:51], -v[16:17], v[48:49], 1.0
	v_fmac_f64_e32 v[48:49], v[48:49], v[50:51]
	v_div_scale_f64 v[50:51], vcc, v[6:7], v[12:13], v[6:7]
	v_mul_f64 v[52:53], v[50:51], v[48:49]
	v_fma_f64 v[16:17], -v[16:17], v[52:53], v[50:51]
	s_nop 1
	v_div_fmas_f64 v[16:17], v[16:17], v[48:49], v[52:53]
	v_div_fixup_f64 v[16:17], v[16:17], v[12:13], v[6:7]
.LBB0_81:
	s_or_b64 exec, exec, s[4:5]
	scratch_load_dwordx2 v[40:41], off, off offset:16 ; 8-byte Folded Reload
	v_add_f64 v[6:7], -v[44:45], -v[46:47]
	v_add_f64 v[6:7], v[6:7], -v[34:35]
	v_add_f64 v[6:7], v[6:7], -v[60:61]
	;; [unrolled: 1-line block ×4, first 2 shown]
	v_fmac_f64_e32 v[6:7], 2.0, v[26:27]
	v_mul_f64 v[44:45], v[88:89], v[42:43]
	v_div_scale_f64 v[46:47], s[0:1], v[44:45], v[44:45], v[100:101]
	v_rcp_f64_e32 v[48:49], v[46:47]
	s_waitcnt vmcnt(0)
	v_mul_f64 v[6:7], v[40:41], v[6:7]
	v_div_scale_f64 v[12:13], s[0:1], v[80:81], v[80:81], v[6:7]
	v_rcp_f64_e32 v[26:27], v[12:13]
	v_div_scale_f64 v[28:29], vcc, v[6:7], v[80:81], v[6:7]
	s_mov_b32 s0, 0x6acf4366
	v_fma_f64 v[34:35], -v[12:13], v[26:27], 1.0
	v_fmac_f64_e32 v[26:27], v[26:27], v[34:35]
	v_fma_f64 v[34:35], -v[12:13], v[26:27], 1.0
	v_fmac_f64_e32 v[26:27], v[26:27], v[34:35]
	v_mul_f64 v[34:35], v[28:29], v[26:27]
	v_fma_f64 v[12:13], -v[12:13], v[34:35], v[28:29]
	s_mov_b32 s1, 0xbf440ed7
	v_div_fmas_f64 v[12:13], v[12:13], v[26:27], v[34:35]
	v_fma_f64 v[26:27], -v[46:47], v[48:49], 1.0
	v_fma_f64 v[10:11], v[10:11], s[0:1], -v[38:39]
	v_fmac_f64_e32 v[48:49], v[48:49], v[26:27]
	v_div_scale_f64 v[34:35], s[0:1], v[120:121], v[120:121], v[10:11]
	v_fma_f64 v[26:27], -v[46:47], v[48:49], 1.0
	v_rcp_f64_e32 v[38:39], v[34:35]
	v_fmac_f64_e32 v[48:49], v[48:49], v[26:27]
	v_div_scale_f64 v[26:27], vcc, v[100:101], v[44:45], v[100:101]
	v_mul_f64 v[28:29], v[26:27], v[48:49]
	v_fma_f64 v[26:27], -v[46:47], v[28:29], v[26:27]
	s_nop 1
	v_div_fmas_f64 v[26:27], v[26:27], v[48:49], v[28:29]
	v_fma_f64 v[28:29], -v[34:35], v[38:39], 1.0
	v_fmac_f64_e32 v[38:39], v[38:39], v[28:29]
	v_fma_f64 v[28:29], -v[34:35], v[38:39], 1.0
	v_fmac_f64_e32 v[38:39], v[38:39], v[28:29]
	v_div_scale_f64 v[28:29], vcc, v[10:11], v[120:121], v[10:11]
	v_div_fixup_f64 v[26:27], v[26:27], v[44:45], v[100:101]
	v_mul_f64 v[44:45], v[28:29], v[38:39]
	v_fma_f64 v[28:29], -v[34:35], v[44:45], v[28:29]
	scratch_load_dwordx2 v[34:35], off, off offset:32 ; 8-byte Folded Reload
	v_div_fmas_f64 v[28:29], v[28:29], v[38:39], v[44:45]
	v_div_fixup_f64 v[10:11], v[28:29], v[120:121], v[10:11]
	v_add_f64 v[10:11], v[10:11], -v[58:59]
	v_fmac_f64_e32 v[18:19], v[10:11], v[14:15]
	v_fma_f64 v[0:1], v[36:37], v[18:19], -v[0:1]
	s_waitcnt vmcnt(0)
	v_mul_f64 v[34:35], v[34:35], v[42:43]
	v_div_scale_f64 v[42:43], s[0:1], v[34:35], v[34:35], v[100:101]
	v_rcp_f64_e32 v[46:47], v[42:43]
	s_nop 0
	v_fma_f64 v[28:29], -v[42:43], v[46:47], 1.0
	v_fmac_f64_e32 v[46:47], v[46:47], v[28:29]
	v_fma_f64 v[28:29], -v[42:43], v[46:47], 1.0
	v_fmac_f64_e32 v[46:47], v[46:47], v[28:29]
	v_div_scale_f64 v[28:29], vcc, v[100:101], v[34:35], v[100:101]
	v_mul_f64 v[38:39], v[28:29], v[46:47]
	v_fma_f64 v[28:29], -v[42:43], v[38:39], v[28:29]
	s_nop 1
	v_div_fmas_f64 v[28:29], v[28:29], v[46:47], v[38:39]
	s_mov_b64 vcc, s[2:3]
	v_div_fixup_f64 v[28:29], v[28:29], v[34:35], v[100:101]
	scratch_load_dwordx2 v[34:35], off, off ; 8-byte Folded Reload
	v_div_fmas_f64 v[18:19], v[32:33], v[20:21], v[30:31]
	scratch_load_dwordx2 v[20:21], off, off offset:112 ; 8-byte Folded Reload
	v_mul_f64 v[10:11], v[28:29], v[10:11]
	v_mul_f64 v[10:11], v[14:15], v[10:11]
	;; [unrolled: 1-line block ×3, first 2 shown]
	s_waitcnt vmcnt(1)
	v_mul_f64 v[24:25], v[34:35], v[24:25]
	s_waitcnt vmcnt(0)
	v_div_fixup_f64 v[18:19], v[18:19], v[114:115], v[20:21]
	v_mul_f64 v[20:21], v[28:29], v[76:77]
	v_fmac_f64_e32 v[10:11], v[20:21], v[22:23]
	v_fma_f64 v[0:1], v[36:37], -v[10:11], -v[0:1]
	v_fmac_f64_e32 v[0:1], v[28:29], v[8:9]
	v_fmac_f64_e32 v[0:1], v[18:19], v[28:29]
	;; [unrolled: 1-line block ×4, first 2 shown]
	v_add_f64 v[2:3], v[4:5], v[16:17]
	scratch_load_dwordx2 v[4:5], off, off offset:136 ; 8-byte Folded Reload
	v_mul_f64 v[0:1], v[40:41], v[0:1]
	v_div_scale_f64 v[8:9], s[0:1], v[80:81], v[80:81], v[0:1]
	v_rcp_f64_e32 v[10:11], v[8:9]
	s_mov_b32 s0, 0xe2308c3a
	s_mov_b32 s1, 0x3e45798e
	s_waitcnt vmcnt(0)
	global_store_dwordx2 v[4:5], v[2:3], off
	v_fma_f64 v[4:5], -v[8:9], v[10:11], 1.0
	v_fmac_f64_e32 v[10:11], v[10:11], v[4:5]
	v_fma_f64 v[4:5], -v[8:9], v[10:11], 1.0
	v_fmac_f64_e32 v[10:11], v[10:11], v[4:5]
	v_div_scale_f64 v[4:5], vcc, v[0:1], v[80:81], v[0:1]
	v_div_fixup_f64 v[2:3], v[12:13], v[80:81], v[6:7]
	v_mul_f64 v[6:7], v[4:5], v[10:11]
	v_fma_f64 v[4:5], -v[8:9], v[6:7], v[4:5]
	s_nop 0
	v_div_fmas_f64 v[4:5], v[4:5], v[10:11], v[6:7]
	v_div_fixup_f64 v[0:1], v[4:5], v[80:81], v[0:1]
	v_cmp_ngt_f64_e64 s[0:1], |v[0:1]|, s[0:1]
                                        ; implicit-def: $vgpr4_vgpr5
	s_and_saveexec_b64 s[2:3], s[0:1]
	s_xor_b64 s[0:1], exec, s[2:3]
; %bb.82:
	v_mul_f64 v[4:5], s[12:13], v[2:3]
                                        ; implicit-def: $vgpr0_vgpr1
                                        ; implicit-def: $vgpr2_vgpr3
; %bb.83:
	s_andn2_saveexec_b64 s[2:3], s[0:1]
	s_cbranch_execz .LBB0_85
; %bb.84:
	s_mov_b32 s0, 0x652b82fe
	v_mul_f64 v[4:5], s[12:13], v[0:1]
	s_mov_b32 s1, 0x3ff71547
	v_mul_f64 v[6:7], v[4:5], s[0:1]
	s_mov_b32 s0, 0xfefa39ef
	v_rndne_f64_e32 v[6:7], v[6:7]
	s_mov_b32 s1, 0xbfe62e42
	v_fma_f64 v[8:9], s[0:1], v[6:7], v[4:5]
	s_mov_b32 s0, 0x3b39803f
	s_mov_b32 s1, 0xbc7abc9e
	v_fmac_f64_e32 v[8:9], s[0:1], v[6:7]
	s_mov_b32 s0, 0x6a5dcb37
	v_mov_b32_e32 v10, 0xfca7ab0c
	v_mov_b32_e32 v11, 0x3e928af3
	s_mov_b32 s1, 0x3e5ade15
	v_fmac_f64_e32 v[10:11], s[0:1], v[8:9]
	v_mov_b32_e32 v12, 0x623fde64
	v_mov_b32_e32 v13, 0x3ec71dee
	v_fmac_f64_e32 v[12:13], v[8:9], v[10:11]
	v_mov_b32_e32 v10, 0x7c89e6b0
	v_mov_b32_e32 v11, 0x3efa0199
	;; [unrolled: 3-line block ×8, first 2 shown]
	v_fmac_f64_e32 v[10:11], v[8:9], v[12:13]
	s_mov_b32 s0, 0
	v_fma_f64 v[10:11], v[8:9], v[10:11], 1.0
	s_mov_b32 s1, 0x40900000
	v_fma_f64 v[8:9], v[8:9], v[10:11], 1.0
	v_cvt_i32_f64_e32 v6, v[6:7]
	v_cmp_nlt_f64_e32 vcc, s[0:1], v[4:5]
	s_mov_b32 s0, 0
	v_ldexp_f64 v[6:7], v[8:9], v6
	s_mov_b32 s1, 0xc090cc00
	v_add_f64 v[6:7], v[6:7], -1.0
	v_mov_b32_e32 v8, 0x7ff00000
	v_cmp_ngt_f64_e64 s[0:1], s[0:1], v[4:5]
	v_cndmask_b32_e32 v7, v8, v7, vcc
	v_mov_b32_e32 v8, 0xbff00000
	s_and_b64 vcc, s[0:1], vcc
	v_cndmask_b32_e64 v5, v8, v7, s[0:1]
	v_cndmask_b32_e32 v4, 0, v6, vcc
	v_mul_f64 v[2:3], v[2:3], v[4:5]
	v_div_scale_f64 v[4:5], s[0:1], v[0:1], v[0:1], v[2:3]
	v_rcp_f64_e32 v[6:7], v[4:5]
	s_nop 0
	v_fma_f64 v[8:9], -v[4:5], v[6:7], 1.0
	v_fmac_f64_e32 v[6:7], v[6:7], v[8:9]
	v_fma_f64 v[8:9], -v[4:5], v[6:7], 1.0
	v_fmac_f64_e32 v[6:7], v[6:7], v[8:9]
	v_div_scale_f64 v[8:9], vcc, v[2:3], v[0:1], v[2:3]
	v_mul_f64 v[10:11], v[8:9], v[6:7]
	v_fma_f64 v[4:5], -v[4:5], v[10:11], v[8:9]
	s_nop 1
	v_div_fmas_f64 v[4:5], v[4:5], v[6:7], v[10:11]
	v_div_fixup_f64 v[4:5], v[4:5], v[0:1], v[2:3]
.LBB0_85:
	s_or_b64 exec, exec, s[2:3]
	scratch_load_dwordx2 v[0:1], off, off offset:32 ; 8-byte Folded Reload
	scratch_load_dwordx2 v[2:3], off, off offset:128 ; 8-byte Folded Reload
	s_waitcnt vmcnt(1)
	v_add_f64 v[0:1], v[0:1], v[4:5]
	s_waitcnt vmcnt(0)
	global_store_dwordx2 v[2:3], v[0:1], off
.LBB0_86:
	s_endpgm
	.section	.rodata,"a",@progbits
	.p2align	6, 0x0
	.amdhsa_kernel _Z21k_forward_rush_larsenPdddPKdi
		.amdhsa_group_segment_fixed_size 0
		.amdhsa_private_segment_fixed_size 444
		.amdhsa_kernarg_size 296
		.amdhsa_user_sgpr_count 2
		.amdhsa_user_sgpr_dispatch_ptr 0
		.amdhsa_user_sgpr_queue_ptr 0
		.amdhsa_user_sgpr_kernarg_segment_ptr 1
		.amdhsa_user_sgpr_dispatch_id 0
		.amdhsa_user_sgpr_kernarg_preload_length 0
		.amdhsa_user_sgpr_kernarg_preload_offset 0
		.amdhsa_user_sgpr_private_segment_size 0
		.amdhsa_uses_dynamic_stack 0
		.amdhsa_enable_private_segment 1
		.amdhsa_system_sgpr_workgroup_id_x 1
		.amdhsa_system_sgpr_workgroup_id_y 0
		.amdhsa_system_sgpr_workgroup_id_z 0
		.amdhsa_system_sgpr_workgroup_info 0
		.amdhsa_system_vgpr_workitem_id 0
		.amdhsa_next_free_vgpr 128
		.amdhsa_next_free_sgpr 56
		.amdhsa_accum_offset 128
		.amdhsa_reserve_vcc 1
		.amdhsa_float_round_mode_32 0
		.amdhsa_float_round_mode_16_64 0
		.amdhsa_float_denorm_mode_32 3
		.amdhsa_float_denorm_mode_16_64 3
		.amdhsa_dx10_clamp 1
		.amdhsa_ieee_mode 1
		.amdhsa_fp16_overflow 0
		.amdhsa_tg_split 0
		.amdhsa_exception_fp_ieee_invalid_op 0
		.amdhsa_exception_fp_denorm_src 0
		.amdhsa_exception_fp_ieee_div_zero 0
		.amdhsa_exception_fp_ieee_overflow 0
		.amdhsa_exception_fp_ieee_underflow 0
		.amdhsa_exception_fp_ieee_inexact 0
		.amdhsa_exception_int_div_zero 0
	.end_amdhsa_kernel
	.text
.Lfunc_end0:
	.size	_Z21k_forward_rush_larsenPdddPKdi, .Lfunc_end0-_Z21k_forward_rush_larsenPdddPKdi
                                        ; -- End function
	.set _Z21k_forward_rush_larsenPdddPKdi.num_vgpr, 128
	.set _Z21k_forward_rush_larsenPdddPKdi.num_agpr, 0
	.set _Z21k_forward_rush_larsenPdddPKdi.numbered_sgpr, 56
	.set _Z21k_forward_rush_larsenPdddPKdi.num_named_barrier, 0
	.set _Z21k_forward_rush_larsenPdddPKdi.private_seg_size, 444
	.set _Z21k_forward_rush_larsenPdddPKdi.uses_vcc, 1
	.set _Z21k_forward_rush_larsenPdddPKdi.uses_flat_scratch, 0
	.set _Z21k_forward_rush_larsenPdddPKdi.has_dyn_sized_stack, 0
	.set _Z21k_forward_rush_larsenPdddPKdi.has_recursion, 0
	.set _Z21k_forward_rush_larsenPdddPKdi.has_indirect_call, 0
	.section	.AMDGPU.csdata,"",@progbits
; Kernel info:
; codeLenInByte = 48032
; TotalNumSgprs: 62
; NumVgprs: 128
; NumAgprs: 0
; TotalNumVgprs: 128
; ScratchSize: 444
; MemoryBound: 0
; FloatMode: 240
; IeeeMode: 1
; LDSByteSize: 0 bytes/workgroup (compile time only)
; SGPRBlocks: 7
; VGPRBlocks: 15
; NumSGPRsForWavesPerEU: 62
; NumVGPRsForWavesPerEU: 128
; AccumOffset: 128
; Occupancy: 4
; WaveLimiterHint : 0
; COMPUTE_PGM_RSRC2:SCRATCH_EN: 1
; COMPUTE_PGM_RSRC2:USER_SGPR: 2
; COMPUTE_PGM_RSRC2:TRAP_HANDLER: 0
; COMPUTE_PGM_RSRC2:TGID_X_EN: 1
; COMPUTE_PGM_RSRC2:TGID_Y_EN: 0
; COMPUTE_PGM_RSRC2:TGID_Z_EN: 0
; COMPUTE_PGM_RSRC2:TIDIG_COMP_CNT: 0
; COMPUTE_PGM_RSRC3_GFX90A:ACCUM_OFFSET: 31
; COMPUTE_PGM_RSRC3_GFX90A:TG_SPLIT: 0
	.text
	.p2alignl 6, 3212836864
	.fill 256, 4, 3212836864
	.section	.AMDGPU.gpr_maximums,"",@progbits
	.set amdgpu.max_num_vgpr, 0
	.set amdgpu.max_num_agpr, 0
	.set amdgpu.max_num_sgpr, 0
	.text
	.type	__hip_cuid_480e11e237cb2f07,@object ; @__hip_cuid_480e11e237cb2f07
	.section	.bss,"aw",@nobits
	.globl	__hip_cuid_480e11e237cb2f07
__hip_cuid_480e11e237cb2f07:
	.byte	0                               ; 0x0
	.size	__hip_cuid_480e11e237cb2f07, 1

	.ident	"AMD clang version 22.0.0git (https://github.com/RadeonOpenCompute/llvm-project roc-7.2.4 26084 f58b06dce1f9c15707c5f808fd002e18c2accf7e)"
	.section	".note.GNU-stack","",@progbits
	.addrsig
	.addrsig_sym __hip_cuid_480e11e237cb2f07
	.amdgpu_metadata
---
amdhsa.kernels:
  - .agpr_count:     0
    .args:
      - .address_space:  global
        .offset:         0
        .size:           8
        .value_kind:     global_buffer
      - .offset:         8
        .size:           8
        .value_kind:     by_value
      - .offset:         16
        .size:           8
        .value_kind:     by_value
      - .address_space:  global
        .offset:         24
        .size:           8
        .value_kind:     global_buffer
      - .offset:         32
        .size:           4
        .value_kind:     by_value
      - .offset:         40
        .size:           4
        .value_kind:     hidden_block_count_x
      - .offset:         44
        .size:           4
        .value_kind:     hidden_block_count_y
      - .offset:         48
        .size:           4
        .value_kind:     hidden_block_count_z
      - .offset:         52
        .size:           2
        .value_kind:     hidden_group_size_x
      - .offset:         54
        .size:           2
        .value_kind:     hidden_group_size_y
      - .offset:         56
        .size:           2
        .value_kind:     hidden_group_size_z
      - .offset:         58
        .size:           2
        .value_kind:     hidden_remainder_x
      - .offset:         60
        .size:           2
        .value_kind:     hidden_remainder_y
      - .offset:         62
        .size:           2
        .value_kind:     hidden_remainder_z
      - .offset:         80
        .size:           8
        .value_kind:     hidden_global_offset_x
      - .offset:         88
        .size:           8
        .value_kind:     hidden_global_offset_y
      - .offset:         96
        .size:           8
        .value_kind:     hidden_global_offset_z
      - .offset:         104
        .size:           2
        .value_kind:     hidden_grid_dims
    .group_segment_fixed_size: 0
    .kernarg_segment_align: 8
    .kernarg_segment_size: 296
    .language:       OpenCL C
    .language_version:
      - 2
      - 0
    .max_flat_workgroup_size: 1024
    .name:           _Z21k_forward_rush_larsenPdddPKdi
    .private_segment_fixed_size: 444
    .sgpr_count:     62
    .sgpr_spill_count: 0
    .symbol:         _Z21k_forward_rush_larsenPdddPKdi.kd
    .uniform_work_group_size: 1
    .uses_dynamic_stack: false
    .vgpr_count:     128
    .vgpr_spill_count: 110
    .wavefront_size: 64
amdhsa.target:   amdgcn-amd-amdhsa--gfx950
amdhsa.version:
  - 1
  - 2
...

	.end_amdgpu_metadata
